;; amdgpu-corpus repo=ROCm/rocFFT kind=compiled arch=gfx950 opt=O3
	.text
	.amdgcn_target "amdgcn-amd-amdhsa--gfx950"
	.amdhsa_code_object_version 6
	.protected	fft_rtc_back_len1176_factors_2_2_2_3_7_7_wgs_56_tpt_56_halfLds_dp_op_CI_CI_sbrr_dirReg ; -- Begin function fft_rtc_back_len1176_factors_2_2_2_3_7_7_wgs_56_tpt_56_halfLds_dp_op_CI_CI_sbrr_dirReg
	.globl	fft_rtc_back_len1176_factors_2_2_2_3_7_7_wgs_56_tpt_56_halfLds_dp_op_CI_CI_sbrr_dirReg
	.p2align	8
	.type	fft_rtc_back_len1176_factors_2_2_2_3_7_7_wgs_56_tpt_56_halfLds_dp_op_CI_CI_sbrr_dirReg,@function
fft_rtc_back_len1176_factors_2_2_2_3_7_7_wgs_56_tpt_56_halfLds_dp_op_CI_CI_sbrr_dirReg: ; @fft_rtc_back_len1176_factors_2_2_2_3_7_7_wgs_56_tpt_56_halfLds_dp_op_CI_CI_sbrr_dirReg
; %bb.0:
	s_load_dwordx4 s[12:15], s[0:1], 0x18
	s_load_dwordx4 s[8:11], s[0:1], 0x0
	;; [unrolled: 1-line block ×3, first 2 shown]
	v_mul_u32_u24_e32 v1, 0x493, v0
	v_add_u32_sdwa v6, s2, v1 dst_sel:DWORD dst_unused:UNUSED_PAD src0_sel:DWORD src1_sel:WORD_1
	s_waitcnt lgkmcnt(0)
	s_load_dwordx2 s[18:19], s[12:13], 0x0
	s_load_dwordx2 s[16:17], s[14:15], 0x0
	v_mov_b32_e32 v2, 0
	v_cmp_lt_u64_e64 s[2:3], s[10:11], 2
	v_mov_b32_e32 v7, v2
	s_and_b64 vcc, exec, s[2:3]
	v_mov_b64_e32 v[4:5], 0
	s_cbranch_vccnz .LBB0_8
; %bb.1:
	s_load_dwordx2 s[2:3], s[0:1], 0x10
	s_add_u32 s20, s14, 8
	s_addc_u32 s21, s15, 0
	s_add_u32 s22, s12, 8
	s_addc_u32 s23, s13, 0
	s_waitcnt lgkmcnt(0)
	s_add_u32 s24, s2, 8
	v_mov_b64_e32 v[4:5], 0
	s_addc_u32 s25, s3, 0
	s_mov_b64 s[26:27], 1
	v_mov_b64_e32 v[110:111], v[4:5]
.LBB0_2:                                ; =>This Inner Loop Header: Depth=1
	s_load_dwordx2 s[28:29], s[24:25], 0x0
                                        ; implicit-def: $vgpr112_vgpr113
	s_waitcnt lgkmcnt(0)
	v_or_b32_e32 v3, s29, v7
	v_cmp_ne_u64_e32 vcc, 0, v[2:3]
	s_and_saveexec_b64 s[2:3], vcc
	s_xor_b64 s[30:31], exec, s[2:3]
	s_cbranch_execz .LBB0_4
; %bb.3:                                ;   in Loop: Header=BB0_2 Depth=1
	v_cvt_f32_u32_e32 v1, s28
	v_cvt_f32_u32_e32 v3, s29
	s_sub_u32 s2, 0, s28
	s_subb_u32 s3, 0, s29
	v_fmac_f32_e32 v1, 0x4f800000, v3
	v_rcp_f32_e32 v1, v1
	s_nop 0
	v_mul_f32_e32 v1, 0x5f7ffffc, v1
	v_mul_f32_e32 v3, 0x2f800000, v1
	v_trunc_f32_e32 v3, v3
	v_fmac_f32_e32 v1, 0xcf800000, v3
	v_cvt_u32_f32_e32 v3, v3
	v_cvt_u32_f32_e32 v1, v1
	v_mul_lo_u32 v8, s2, v3
	v_mul_hi_u32 v10, s2, v1
	v_mul_lo_u32 v9, s3, v1
	v_add_u32_e32 v10, v10, v8
	v_mul_lo_u32 v12, s2, v1
	v_add_u32_e32 v13, v10, v9
	v_mul_hi_u32 v8, v1, v12
	v_mul_hi_u32 v11, v1, v13
	v_mul_lo_u32 v10, v1, v13
	v_mov_b32_e32 v9, v2
	v_lshl_add_u64 v[8:9], v[8:9], 0, v[10:11]
	v_mul_hi_u32 v11, v3, v12
	v_mul_lo_u32 v12, v3, v12
	v_add_co_u32_e32 v8, vcc, v8, v12
	v_mul_hi_u32 v10, v3, v13
	s_nop 0
	v_addc_co_u32_e32 v8, vcc, v9, v11, vcc
	v_mov_b32_e32 v9, v2
	s_nop 0
	v_addc_co_u32_e32 v11, vcc, 0, v10, vcc
	v_mul_lo_u32 v10, v3, v13
	v_lshl_add_u64 v[8:9], v[8:9], 0, v[10:11]
	v_add_co_u32_e32 v1, vcc, v1, v8
	v_mul_lo_u32 v10, s2, v1
	s_nop 0
	v_addc_co_u32_e32 v3, vcc, v3, v9, vcc
	v_mul_lo_u32 v8, s2, v3
	v_mul_hi_u32 v9, s2, v1
	v_add_u32_e32 v8, v9, v8
	v_mul_lo_u32 v9, s3, v1
	v_add_u32_e32 v12, v8, v9
	v_mul_hi_u32 v14, v3, v10
	v_mul_lo_u32 v15, v3, v10
	v_mul_hi_u32 v9, v1, v12
	v_mul_lo_u32 v8, v1, v12
	v_mul_hi_u32 v10, v1, v10
	v_mov_b32_e32 v11, v2
	v_lshl_add_u64 v[8:9], v[10:11], 0, v[8:9]
	v_add_co_u32_e32 v8, vcc, v8, v15
	v_mul_hi_u32 v13, v3, v12
	s_nop 0
	v_addc_co_u32_e32 v8, vcc, v9, v14, vcc
	v_mul_lo_u32 v10, v3, v12
	s_nop 0
	v_addc_co_u32_e32 v11, vcc, 0, v13, vcc
	v_mov_b32_e32 v9, v2
	v_lshl_add_u64 v[8:9], v[8:9], 0, v[10:11]
	v_add_co_u32_e32 v1, vcc, v1, v8
	v_mul_hi_u32 v10, v6, v1
	s_nop 0
	v_addc_co_u32_e32 v3, vcc, v3, v9, vcc
	v_mad_u64_u32 v[8:9], s[2:3], v6, v3, 0
	v_mov_b32_e32 v11, v2
	v_lshl_add_u64 v[8:9], v[10:11], 0, v[8:9]
	v_mad_u64_u32 v[12:13], s[2:3], v7, v1, 0
	v_add_co_u32_e32 v1, vcc, v8, v12
	v_mad_u64_u32 v[10:11], s[2:3], v7, v3, 0
	s_nop 0
	v_addc_co_u32_e32 v8, vcc, v9, v13, vcc
	v_mov_b32_e32 v9, v2
	s_nop 0
	v_addc_co_u32_e32 v11, vcc, 0, v11, vcc
	v_lshl_add_u64 v[8:9], v[8:9], 0, v[10:11]
	v_mul_lo_u32 v1, s29, v8
	v_mul_lo_u32 v3, s28, v9
	v_mad_u64_u32 v[10:11], s[2:3], s28, v8, 0
	v_add3_u32 v1, v11, v3, v1
	v_sub_u32_e32 v3, v7, v1
	v_mov_b32_e32 v11, s29
	v_sub_co_u32_e32 v14, vcc, v6, v10
	v_lshl_add_u64 v[12:13], v[8:9], 0, 1
	s_nop 0
	v_subb_co_u32_e64 v3, s[2:3], v3, v11, vcc
	v_subrev_co_u32_e64 v10, s[2:3], s28, v14
	v_subb_co_u32_e32 v1, vcc, v7, v1, vcc
	s_nop 0
	v_subbrev_co_u32_e64 v3, s[2:3], 0, v3, s[2:3]
	v_cmp_le_u32_e64 s[2:3], s29, v3
	v_cmp_le_u32_e32 vcc, s29, v1
	s_nop 0
	v_cndmask_b32_e64 v11, 0, -1, s[2:3]
	v_cmp_le_u32_e64 s[2:3], s28, v10
	s_nop 1
	v_cndmask_b32_e64 v10, 0, -1, s[2:3]
	v_cmp_eq_u32_e64 s[2:3], s29, v3
	s_nop 1
	v_cndmask_b32_e64 v3, v11, v10, s[2:3]
	v_lshl_add_u64 v[10:11], v[8:9], 0, 2
	v_cmp_ne_u32_e64 s[2:3], 0, v3
	s_nop 1
	v_cndmask_b32_e64 v3, v13, v11, s[2:3]
	v_cndmask_b32_e64 v11, 0, -1, vcc
	v_cmp_le_u32_e32 vcc, s28, v14
	s_nop 1
	v_cndmask_b32_e64 v13, 0, -1, vcc
	v_cmp_eq_u32_e32 vcc, s29, v1
	s_nop 1
	v_cndmask_b32_e32 v1, v11, v13, vcc
	v_cmp_ne_u32_e32 vcc, 0, v1
	v_cndmask_b32_e64 v1, v12, v10, s[2:3]
	s_nop 0
	v_cndmask_b32_e32 v113, v9, v3, vcc
	v_cndmask_b32_e32 v112, v8, v1, vcc
.LBB0_4:                                ;   in Loop: Header=BB0_2 Depth=1
	s_andn2_saveexec_b64 s[2:3], s[30:31]
	s_cbranch_execz .LBB0_6
; %bb.5:                                ;   in Loop: Header=BB0_2 Depth=1
	v_cvt_f32_u32_e32 v1, s28
	s_sub_i32 s30, 0, s28
	v_mov_b32_e32 v113, v2
	v_rcp_iflag_f32_e32 v1, v1
	s_nop 0
	v_mul_f32_e32 v1, 0x4f7ffffe, v1
	v_cvt_u32_f32_e32 v1, v1
	v_mul_lo_u32 v3, s30, v1
	v_mul_hi_u32 v3, v1, v3
	v_add_u32_e32 v1, v1, v3
	v_mul_hi_u32 v1, v6, v1
	v_mul_lo_u32 v3, v1, s28
	v_sub_u32_e32 v3, v6, v3
	v_add_u32_e32 v8, 1, v1
	v_subrev_u32_e32 v9, s28, v3
	v_cmp_le_u32_e32 vcc, s28, v3
	s_nop 1
	v_cndmask_b32_e32 v3, v3, v9, vcc
	v_cndmask_b32_e32 v1, v1, v8, vcc
	v_add_u32_e32 v8, 1, v1
	v_cmp_le_u32_e32 vcc, s28, v3
	s_nop 1
	v_cndmask_b32_e32 v112, v1, v8, vcc
.LBB0_6:                                ;   in Loop: Header=BB0_2 Depth=1
	s_or_b64 exec, exec, s[2:3]
	v_mad_u64_u32 v[8:9], s[2:3], v112, s28, 0
	s_load_dwordx2 s[2:3], s[22:23], 0x0
	v_mul_lo_u32 v1, v113, s28
	v_mul_lo_u32 v3, v112, s29
	s_load_dwordx2 s[28:29], s[20:21], 0x0
	s_add_u32 s26, s26, 1
	v_add3_u32 v1, v9, v3, v1
	v_sub_co_u32_e32 v3, vcc, v6, v8
	s_addc_u32 s27, s27, 0
	s_nop 0
	v_subb_co_u32_e32 v1, vcc, v7, v1, vcc
	s_add_u32 s20, s20, 8
	s_waitcnt lgkmcnt(0)
	v_mul_lo_u32 v6, s2, v1
	v_mul_lo_u32 v7, s3, v3
	v_mad_u64_u32 v[4:5], s[2:3], s2, v3, v[4:5]
	s_addc_u32 s21, s21, 0
	v_add3_u32 v5, v7, v5, v6
	v_mul_lo_u32 v1, s28, v1
	v_mul_lo_u32 v6, s29, v3
	v_mad_u64_u32 v[110:111], s[2:3], s28, v3, v[110:111]
	s_add_u32 s22, s22, 8
	v_add3_u32 v111, v6, v111, v1
	s_addc_u32 s23, s23, 0
	v_mov_b64_e32 v[6:7], s[10:11]
	s_add_u32 s24, s24, 8
	v_cmp_ge_u64_e32 vcc, s[26:27], v[6:7]
	s_addc_u32 s25, s25, 0
	s_cbranch_vccnz .LBB0_9
; %bb.7:                                ;   in Loop: Header=BB0_2 Depth=1
	v_mov_b64_e32 v[6:7], v[112:113]
	s_branch .LBB0_2
.LBB0_8:
	v_mov_b64_e32 v[110:111], v[4:5]
	v_mov_b64_e32 v[112:113], v[6:7]
.LBB0_9:
	s_load_dwordx2 s[0:1], s[0:1], 0x28
	s_lshl_b64 s[20:21], s[10:11], 3
	s_add_u32 s2, s14, s20
	s_addc_u32 s3, s15, s21
                                        ; implicit-def: $vgpr120
                                        ; implicit-def: $vgpr121
                                        ; implicit-def: $vgpr122
                                        ; implicit-def: $vgpr129
                                        ; implicit-def: $vgpr130
                                        ; implicit-def: $vgpr131
                                        ; implicit-def: $vgpr132
                                        ; implicit-def: $vgpr114
                                        ; implicit-def: $vgpr115
                                        ; implicit-def: $vgpr116
	s_waitcnt lgkmcnt(0)
	v_cmp_gt_u64_e32 vcc, s[0:1], v[112:113]
	v_cmp_le_u64_e64 s[0:1], s[0:1], v[112:113]
	s_and_saveexec_b64 s[10:11], s[0:1]
	s_xor_b64 s[0:1], exec, s[10:11]
	s_cbranch_execz .LBB0_11
; %bb.10:
	s_mov_b32 s10, 0x4924925
	v_mul_hi_u32 v1, v0, s10
	v_mul_u32_u24_e32 v1, 56, v1
	v_sub_u32_e32 v120, v0, v1
	v_add_u32_e32 v121, 56, v120
	v_add_u32_e32 v122, 0x70, v120
	;; [unrolled: 1-line block ×7, first 2 shown]
	v_or_b32_e32 v115, 0x1c0, v120
	v_add_u32_e32 v116, 0x1f8, v120
                                        ; implicit-def: $vgpr0
                                        ; implicit-def: $vgpr4_vgpr5
.LBB0_11:
	s_or_saveexec_b64 s[10:11], s[0:1]
	s_load_dwordx2 s[2:3], s[2:3], 0x0
                                        ; implicit-def: $vgpr76_vgpr77
                                        ; implicit-def: $vgpr68_vgpr69
                                        ; implicit-def: $vgpr24_vgpr25
                                        ; implicit-def: $vgpr16_vgpr17
                                        ; implicit-def: $vgpr36_vgpr37
                                        ; implicit-def: $vgpr2_vgpr3
                                        ; implicit-def: $vgpr12_vgpr13
                                        ; implicit-def: $vgpr8_vgpr9
                                        ; implicit-def: $vgpr28_vgpr29
                                        ; implicit-def: $vgpr20_vgpr21
                                        ; implicit-def: $vgpr44_vgpr45
                                        ; implicit-def: $vgpr32_vgpr33
                                        ; implicit-def: $vgpr56_vgpr57
                                        ; implicit-def: $vgpr52_vgpr53
                                        ; implicit-def: $vgpr64_vgpr65
                                        ; implicit-def: $vgpr60_vgpr61
                                        ; implicit-def: $vgpr80_vgpr81
                                        ; implicit-def: $vgpr72_vgpr73
                                        ; implicit-def: $vgpr88_vgpr89
                                        ; implicit-def: $vgpr84_vgpr85
                                        ; implicit-def: $vgpr48_vgpr49
                                        ; implicit-def: $vgpr40_vgpr41
	s_xor_b64 exec, exec, s[10:11]
	s_cbranch_execz .LBB0_15
; %bb.12:
	s_add_u32 s0, s12, s20
	s_addc_u32 s1, s13, s21
	s_load_dwordx2 s[0:1], s[0:1], 0x0
	s_mov_b32 s12, 0x4924925
	s_waitcnt lgkmcnt(0)
	v_mul_lo_u32 v1, s1, v112
	v_mul_lo_u32 v6, s0, v113
	v_mad_u64_u32 v[2:3], s[0:1], s0, v112, 0
	v_add3_u32 v3, v3, v6, v1
	v_mul_hi_u32 v1, v0, s12
	v_mul_u32_u24_e32 v1, 56, v1
	v_sub_u32_e32 v120, v0, v1
	v_mad_u64_u32 v[0:1], s[0:1], s18, v120, 0
	v_mov_b32_e32 v6, v1
	v_mad_u64_u32 v[6:7], s[0:1], s19, v120, v[6:7]
	v_lshl_add_u64 v[2:3], v[2:3], 4, s[4:5]
	v_add_u32_e32 v7, 0x24c, v120
	v_lshl_add_u64 v[4:5], v[4:5], 4, v[2:3]
	v_mad_u64_u32 v[2:3], s[0:1], s18, v7, 0
	v_mov_b32_e32 v1, v6
	v_mov_b32_e32 v6, v3
	v_mad_u64_u32 v[6:7], s[0:1], s19, v7, v[6:7]
	v_add_u32_e32 v121, 56, v120
	v_mov_b32_e32 v3, v6
	v_mad_u64_u32 v[6:7], s[0:1], s18, v121, 0
	v_mov_b32_e32 v8, v7
	v_mad_u64_u32 v[8:9], s[0:1], s19, v121, v[8:9]
	v_add_u32_e32 v11, 0x284, v120
	v_mov_b32_e32 v7, v8
	v_mad_u64_u32 v[8:9], s[0:1], s18, v11, 0
	;; [unrolled: 5-line block ×14, first 2 shown]
	v_mov_b32_e32 v34, v33
	v_mad_u64_u32 v[34:35], s[0:1], s19, v35, v[34:35]
	v_or_b32_e32 v115, 0x1c0, v120
	v_mov_b32_e32 v33, v34
	v_mad_u64_u32 v[34:35], s[0:1], s18, v115, 0
	v_mov_b32_e32 v36, v35
	v_mad_u64_u32 v[36:37], s[0:1], s19, v115, v[36:37]
	v_add_u32_e32 v39, 0x40c, v120
	v_mov_b32_e32 v35, v36
	v_mad_u64_u32 v[36:37], s[0:1], s18, v39, 0
	v_mov_b32_e32 v38, v37
	v_add_u32_e32 v116, 0x1f8, v120
	v_mad_u64_u32 v[38:39], s[0:1], s19, v39, v[38:39]
	v_mad_u64_u32 v[42:43], s[0:1], s18, v116, 0
	v_mov_b32_e32 v37, v38
	v_mov_b32_e32 v38, v43
	v_mad_u64_u32 v[38:39], s[0:1], s19, v116, v[38:39]
	v_add_u32_e32 v39, 0x444, v120
	v_mad_u64_u32 v[44:45], s[0:1], s18, v39, 0
	v_mov_b32_e32 v43, v38
	v_mov_b32_e32 v38, v45
	v_mad_u64_u32 v[50:51], s[0:1], s19, v39, v[38:39]
	v_lshl_add_u64 v[0:1], v[0:1], 4, v[4:5]
	v_lshl_add_u64 v[2:3], v[2:3], 4, v[4:5]
	;; [unrolled: 1-line block ×8, first 2 shown]
	v_mov_b32_e32 v45, v50
	global_load_dwordx4 v[38:41], v[0:1], off
	global_load_dwordx4 v[46:49], v[2:3], off
	v_lshl_add_u64 v[68:69], v[8:9], 4, v[4:5]
	v_lshl_add_u64 v[74:75], v[10:11], 4, v[4:5]
	;; [unrolled: 1-line block ×12, first 2 shown]
	global_load_dwordx4 v[82:85], v[66:67], off
	global_load_dwordx4 v[86:89], v[68:69], off
	;; [unrolled: 1-line block ×15, first 2 shown]
                                        ; kill: killed $vgpr100_vgpr101
                                        ; kill: killed $vgpr96_vgpr97
                                        ; kill: killed $vgpr24_vgpr25
                                        ; kill: killed $vgpr92_vgpr93
                                        ; kill: killed $vgpr16_vgpr17
                                        ; kill: killed $vgpr76_vgpr77
                                        ; kill: killed $vgpr68_vgpr69
                                        ; kill: killed $vgpr34_vgpr35
                                        ; kill: killed $vgpr98_vgpr99
                                        ; kill: killed $vgpr94_vgpr95
                                        ; kill: killed $vgpr22_vgpr23
                                        ; kill: killed $vgpr90_vgpr91
                                        ; kill: killed $vgpr14_vgpr15
                                        ; kill: killed $vgpr74_vgpr75
                                        ; kill: killed $vgpr66_vgpr67
	s_nop 0
	global_load_dwordx4 v[34:37], v[102:103], off
	global_load_dwordx4 v[14:17], v[104:105], off
	;; [unrolled: 1-line block ×3, first 2 shown]
	v_cmp_gt_u32_e64 s[0:1], 28, v120
                                        ; implicit-def: $vgpr66_vgpr67
                                        ; implicit-def: $vgpr74_vgpr75
	s_and_saveexec_b64 s[4:5], s[0:1]
	s_cbranch_execz .LBB0_14
; %bb.13:
	v_add_u32_e32 v69, 0x230, v120
	v_mad_u64_u32 v[66:67], s[0:1], s18, v69, 0
	v_mov_b32_e32 v68, v67
	v_mad_u64_u32 v[68:69], s[0:1], s19, v69, v[68:69]
	v_mov_b32_e32 v67, v68
	v_add_u32_e32 v69, 0x47c, v120
	v_lshl_add_u64 v[90:91], v[66:67], 4, v[4:5]
	v_mad_u64_u32 v[66:67], s[0:1], s18, v69, 0
	v_mov_b32_e32 v68, v67
	v_mad_u64_u32 v[68:69], s[0:1], s19, v69, v[68:69]
	v_mov_b32_e32 v67, v68
	v_lshl_add_u64 v[4:5], v[66:67], 4, v[4:5]
	global_load_dwordx4 v[66:69], v[90:91], off
	global_load_dwordx4 v[74:77], v[4:5], off
.LBB0_14:
	s_or_b64 exec, exec, s[4:5]
.LBB0_15:
	s_or_b64 exec, exec, s[10:11]
	s_waitcnt vmcnt(18)
	v_add_f64 v[92:93], v[38:39], -v[46:47]
	s_waitcnt vmcnt(16)
	v_add_f64 v[96:97], v[82:83], -v[86:87]
	;; [unrolled: 2-line block ×3, first 2 shown]
	v_fma_f64 v[90:91], v[38:39], 2.0, -v[92:93]
	v_fma_f64 v[94:95], v[82:83], 2.0, -v[96:97]
	v_add_f64 v[100:101], v[70:71], -v[78:79]
	v_add_f64 v[104:105], v[58:59], -v[62:63]
	v_fma_f64 v[124:125], v[30:31], 2.0, -v[126:127]
	v_lshl_add_u32 v30, v120, 4, 0
	v_lshl_add_u32 v31, v121, 4, 0
	v_fma_f64 v[98:99], v[70:71], 2.0, -v[100:101]
	v_fma_f64 v[102:103], v[58:59], 2.0, -v[104:105]
	ds_write_b128 v30, v[90:93]
	ds_write_b128 v31, v[94:97]
	v_lshl_add_u32 v38, v122, 4, 0
	s_waitcnt vmcnt(4)
	v_add_f64 v[96:97], v[6:7], -v[10:11]
	v_lshl_add_u32 v39, v129, 4, 0
	v_add_f64 v[108:109], v[50:51], -v[54:55]
	v_add_f64 v[92:93], v[18:19], -v[26:27]
	ds_write_b128 v38, v[98:101]
	v_fma_f64 v[94:95], v[6:7], 2.0, -v[96:97]
	ds_write_b128 v39, v[102:105]
	s_waitcnt vmcnt(2)
	v_add_f64 v[100:101], v[0:1], -v[34:35]
	s_waitcnt vmcnt(0)
	v_add_f64 v[104:105], v[14:15], -v[22:23]
	v_add_f64 v[6:7], v[66:67], -v[74:75]
	v_add_u32_e32 v86, 0x230, v120
	v_fma_f64 v[106:107], v[50:51], 2.0, -v[108:109]
	v_fma_f64 v[90:91], v[18:19], 2.0, -v[92:93]
	;; [unrolled: 1-line block ×3, first 2 shown]
	v_lshl_add_u32 v42, v130, 4, 0
	v_fma_f64 v[102:103], v[14:15], 2.0, -v[104:105]
	v_lshl_add_u32 v43, v131, 4, 0
	v_lshl_add_u32 v46, v132, 4, 0
	v_fma_f64 v[4:5], v[66:67], 2.0, -v[6:7]
	v_lshl_add_u32 v47, v114, 4, 0
	v_lshl_add_u32 v50, v115, 4, 0
	;; [unrolled: 1-line block ×3, first 2 shown]
	v_cmp_gt_u32_e64 s[0:1], 28, v120
	v_lshl_add_u32 v34, v86, 4, 0
	ds_write_b128 v42, v[106:109]
	ds_write_b128 v43, v[124:127]
	;; [unrolled: 1-line block ×6, first 2 shown]
	s_and_saveexec_b64 s[4:5], s[0:1]
	s_cbranch_execz .LBB0_17
; %bb.16:
	ds_write_b128 v34, v[4:7]
.LBB0_17:
	s_or_b64 exec, exec, s[4:5]
	v_lshl_add_u32 v123, v120, 3, 0
	v_add_u32_e32 v1, 0x1000, v123
	s_waitcnt lgkmcnt(0)
	; wave barrier
	s_waitcnt lgkmcnt(0)
	ds_read2_b64 v[90:93], v1 offset0:76 offset1:132
	v_lshlrev_b32_e32 v0, 3, v122
	ds_read2_b64 v[94:97], v1 offset0:188 offset1:244
	v_lshlrev_b32_e32 v1, 3, v129
	v_lshlrev_b32_e32 v74, 3, v130
	;; [unrolled: 1-line block ×4, first 2 shown]
	v_sub_u32_e32 v18, v38, v0
	v_sub_u32_e32 v22, v39, v1
	;; [unrolled: 1-line block ×3, first 2 shown]
	v_add_u32_e32 v27, 0x1800, v123
	v_lshlrev_b32_e32 v75, 3, v131
	v_sub_u32_e32 v58, v46, v82
	v_sub_u32_e32 v62, v47, v83
	v_lshl_add_u32 v125, v121, 3, 0
	ds_read_b64 v[10:11], v123
	ds_read_b64 v[14:15], v125
	;; [unrolled: 1-line block ×4, first 2 shown]
	ds_read2_b64 v[98:101], v27 offset0:44 offset1:100
	v_sub_u32_e32 v35, v43, v75
	ds_read2_b64 v[102:105], v27 offset0:156 offset1:212
	ds_read_b64 v[26:27], v26
	ds_read_b64 v[54:55], v35
	;; [unrolled: 1-line block ×4, first 2 shown]
	v_lshlrev_b32_e32 v117, 3, v115
	v_lshlrev_b32_e32 v118, 3, v116
	v_sub_u32_e32 v35, v50, v117
	v_add_u32_e32 v66, 0x2000, v123
	v_sub_u32_e32 v70, v51, v118
	ds_read2_b64 v[106:109], v66 offset0:12 offset1:68
	ds_read_b64 v[66:67], v35
	ds_read_b64 v[70:71], v70
	s_and_saveexec_b64 s[4:5], s[0:1]
	s_cbranch_execz .LBB0_19
; %bb.18:
	ds_read_b64 v[4:5], v123 offset:4480
	ds_read_b64 v[6:7], v123 offset:9184
.LBB0_19:
	s_or_b64 exec, exec, s[4:5]
	v_add_f64 v[168:169], v[2:3], -v[36:37]
	v_add_f64 v[136:137], v[40:41], -v[48:49]
	v_fma_f64 v[166:167], v[2:3], 2.0, -v[168:169]
	v_add_f64 v[2:3], v[68:69], -v[76:77]
	v_sub_u32_e32 v35, 0, v0
	v_sub_u32_e32 v87, 0, v1
	v_sub_u32_e32 v79, 0, v74
	v_sub_u32_e32 v78, 0, v75
	v_sub_u32_e32 v75, 0, v82
	v_sub_u32_e32 v74, 0, v83
	v_sub_u32_e32 v83, 0, v117
	v_sub_u32_e32 v82, 0, v118
	v_fma_f64 v[134:135], v[40:41], 2.0, -v[136:137]
	v_add_f64 v[140:141], v[84:85], -v[88:89]
	v_add_f64 v[144:145], v[72:73], -v[80:81]
	;; [unrolled: 1-line block ×8, first 2 shown]
	v_fma_f64 v[0:1], v[68:69], 2.0, -v[2:3]
	v_fma_f64 v[138:139], v[84:85], 2.0, -v[140:141]
	;; [unrolled: 1-line block ×9, first 2 shown]
	s_waitcnt lgkmcnt(0)
	; wave barrier
	s_waitcnt lgkmcnt(0)
	ds_write_b128 v30, v[134:137]
	ds_write_b128 v31, v[138:141]
	;; [unrolled: 1-line block ×10, first 2 shown]
	s_and_saveexec_b64 s[4:5], s[0:1]
	s_cbranch_execz .LBB0_21
; %bb.20:
	ds_write_b128 v34, v[0:3]
.LBB0_21:
	s_or_b64 exec, exec, s[4:5]
	v_add_u32_e32 v8, 0x1000, v123
	s_waitcnt lgkmcnt(0)
	; wave barrier
	s_waitcnt lgkmcnt(0)
	ds_read2_b64 v[28:31], v8 offset0:76 offset1:132
	v_add_u32_e32 v126, v38, v35
	ds_read2_b64 v[32:35], v8 offset0:188 offset1:244
	v_add_u32_e32 v133, v42, v79
	v_add_u32_e32 v8, 0x1800, v123
	;; [unrolled: 1-line block ×3, first 2 shown]
	ds_read_b64 v[72:73], v123
	ds_read_b64 v[68:69], v125
	;; [unrolled: 1-line block ×4, first 2 shown]
	ds_read2_b64 v[36:39], v8 offset0:44 offset1:100
	v_add_u32_e32 v134, v43, v78
	v_add_u32_e32 v127, v46, v75
	ds_read2_b64 v[40:43], v8 offset0:156 offset1:212
	v_add_u32_e32 v135, v47, v74
	ds_read_b64 v[80:81], v133
	ds_read_b64 v[78:79], v134
	;; [unrolled: 1-line block ×4, first 2 shown]
	v_add_u32_e32 v147, v50, v83
	v_add_u32_e32 v8, 0x2000, v123
	ds_read2_b64 v[44:47], v8 offset0:12 offset1:68
	v_add_u32_e32 v124, v51, v82
	ds_read_b64 v[84:85], v147
	ds_read_b64 v[82:83], v124
	v_lshlrev_b32_e32 v136, 1, v120
	v_lshlrev_b32_e32 v137, 1, v121
	;; [unrolled: 1-line block ×10, first 2 shown]
	s_and_saveexec_b64 s[4:5], s[0:1]
	s_cbranch_execz .LBB0_23
; %bb.22:
	ds_read_b64 v[0:1], v123 offset:4480
	ds_read_b64 v[2:3], v123 offset:9184
.LBB0_23:
	s_or_b64 exec, exec, s[4:5]
	v_and_b32_e32 v148, 1, v120
	v_lshlrev_b32_e32 v8, 4, v148
	global_load_dwordx4 v[48:51], v8, s[8:9]
	s_movk_i32 s4, 0x7c
	s_movk_i32 s5, 0xfc
	;; [unrolled: 1-line block ×6, first 2 shown]
	v_and_or_b32 v8, v136, s4, v148
	v_and_or_b32 v9, v137, s5, v148
	;; [unrolled: 1-line block ×10, first 2 shown]
	v_lshl_add_u32 v149, v8, 3, 0
	v_lshl_add_u32 v150, v9, 3, 0
	;; [unrolled: 1-line block ×10, first 2 shown]
	v_lshlrev_b32_e32 v146, 1, v86
	s_waitcnt lgkmcnt(0)
	; wave barrier
	s_waitcnt vmcnt(0) lgkmcnt(0)
	v_mul_f64 v[8:9], v[28:29], v[50:51]
	v_mul_f64 v[56:57], v[40:41], v[50:51]
	;; [unrolled: 1-line block ×11, first 2 shown]
	v_fmac_f64_e32 v[8:9], v[90:91], v[48:49]
	v_fmac_f64_e32 v[56:57], v[102:103], v[48:49]
	;; [unrolled: 1-line block ×11, first 2 shown]
	v_add_f64 v[8:9], v[10:11], -v[8:9]
	v_add_f64 v[162:163], v[58:59], -v[56:57]
	v_add_f64 v[56:57], v[4:5], -v[118:119]
	v_add_f64 v[12:13], v[14:15], -v[12:13]
	v_add_f64 v[16:17], v[18:19], -v[16:17]
	v_add_f64 v[20:21], v[22:23], -v[20:21]
	v_add_f64 v[24:25], v[26:27], -v[24:25]
	v_add_f64 v[160:161], v[54:55], -v[52:53]
	v_add_f64 v[88:89], v[62:63], -v[88:89]
	v_add_f64 v[114:115], v[66:67], -v[114:115]
	v_add_f64 v[116:117], v[70:71], -v[116:117]
	v_fma_f64 v[10:11], v[10:11], 2.0, -v[8:9]
	v_fma_f64 v[52:53], v[4:5], 2.0, -v[56:57]
	;; [unrolled: 1-line block ×11, first 2 shown]
	ds_write2_b64 v149, v[10:11], v[8:9] offset1:2
	ds_write2_b64 v150, v[14:15], v[12:13] offset1:2
	;; [unrolled: 1-line block ×10, first 2 shown]
	s_and_saveexec_b64 s[4:5], s[0:1]
	s_cbranch_execz .LBB0_25
; %bb.24:
	s_movk_i32 s10, 0x4fc
	v_and_or_b32 v4, v146, s10, v148
	v_lshl_add_u32 v4, v4, 3, 0
	ds_write2_b64 v4, v[52:53], v[56:57] offset1:2
.LBB0_25:
	s_or_b64 exec, exec, s[4:5]
	v_add_u32_e32 v4, 0x1000, v123
	s_waitcnt lgkmcnt(0)
	; wave barrier
	s_waitcnt lgkmcnt(0)
	ds_read2_b64 v[12:15], v4 offset0:76 offset1:132
	ds_read2_b64 v[8:11], v4 offset0:188 offset1:244
	ds_read_b64 v[54:55], v123
	ds_read_b64 v[58:59], v125
	;; [unrolled: 1-line block ×4, first 2 shown]
	v_add_u32_e32 v4, 0x1800, v123
	ds_read2_b64 v[20:23], v4 offset0:44 offset1:100
	ds_read2_b64 v[16:19], v4 offset0:156 offset1:212
	ds_read_b64 v[70:71], v133
	ds_read_b64 v[86:87], v134
	;; [unrolled: 1-line block ×4, first 2 shown]
	v_add_u32_e32 v4, 0x2000, v123
	ds_read2_b64 v[24:27], v4 offset0:12 offset1:68
	ds_read_b64 v[116:117], v147
	ds_read_b64 v[118:119], v124
	s_and_saveexec_b64 s[4:5], s[0:1]
	s_cbranch_execz .LBB0_27
; %bb.26:
	ds_read_b64 v[52:53], v123 offset:4480
	ds_read_b64 v[56:57], v123 offset:9184
.LBB0_27:
	s_or_b64 exec, exec, s[4:5]
	v_mul_f64 v[4:5], v[90:91], v[50:51]
	v_fma_f64 v[4:5], v[28:29], v[48:49], -v[4:5]
	v_mul_f64 v[28:29], v[92:93], v[50:51]
	v_fma_f64 v[28:29], v[30:31], v[48:49], -v[28:29]
	;; [unrolled: 2-line block ×8, first 2 shown]
	v_mul_f64 v[42:43], v[106:107], v[50:51]
	v_mul_f64 v[6:7], v[6:7], v[50:51]
	v_fma_f64 v[42:43], v[44:45], v[48:49], -v[42:43]
	v_mul_f64 v[44:45], v[108:109], v[50:51]
	v_fma_f64 v[2:3], v[2:3], v[48:49], -v[6:7]
	v_fma_f64 v[44:45], v[46:47], v[48:49], -v[44:45]
	v_add_f64 v[4:5], v[72:73], -v[4:5]
	v_add_f64 v[28:29], v[68:69], -v[28:29]
	v_add_f64 v[36:37], v[78:79], -v[36:37]
	v_add_f64 v[46:47], v[0:1], -v[2:3]
	v_fma_f64 v[6:7], v[72:73], 2.0, -v[4:5]
	v_fma_f64 v[48:49], v[68:69], 2.0, -v[28:29]
	v_add_f64 v[30:31], v[64:65], -v[30:31]
	v_add_f64 v[32:33], v[60:61], -v[32:33]
	;; [unrolled: 1-line block ×3, first 2 shown]
	v_fma_f64 v[68:69], v[78:79], 2.0, -v[36:37]
	v_add_f64 v[38:39], v[76:77], -v[38:39]
	v_add_f64 v[40:41], v[74:75], -v[40:41]
	;; [unrolled: 1-line block ×4, first 2 shown]
	v_fma_f64 v[44:45], v[0:1], 2.0, -v[46:47]
	v_fma_f64 v[50:51], v[64:65], 2.0, -v[30:31]
	;; [unrolled: 1-line block ×8, first 2 shown]
	s_waitcnt lgkmcnt(0)
	; wave barrier
	s_waitcnt lgkmcnt(0)
	ds_write2_b64 v149, v[6:7], v[4:5] offset1:2
	ds_write2_b64 v150, v[48:49], v[28:29] offset1:2
	;; [unrolled: 1-line block ×10, first 2 shown]
	s_and_saveexec_b64 s[4:5], s[0:1]
	s_cbranch_execz .LBB0_29
; %bb.28:
	s_movk_i32 s10, 0x4fc
	v_and_or_b32 v0, v146, s10, v148
	v_lshl_add_u32 v0, v0, 3, 0
	ds_write2_b64 v0, v[44:45], v[46:47] offset1:2
.LBB0_29:
	s_or_b64 exec, exec, s[4:5]
	v_add_u32_e32 v0, 0x1000, v123
	v_add_u32_e32 v4, 0x1800, v123
	s_waitcnt lgkmcnt(0)
	; wave barrier
	s_waitcnt lgkmcnt(0)
	ds_read2_b64 v[28:31], v0 offset0:76 offset1:132
	ds_read2_b64 v[0:3], v0 offset0:188 offset1:244
	ds_read_b64 v[68:69], v123
	ds_read_b64 v[60:61], v125
	;; [unrolled: 1-line block ×4, first 2 shown]
	ds_read2_b64 v[36:39], v4 offset0:44 offset1:100
	ds_read2_b64 v[32:35], v4 offset0:156 offset1:212
	ds_read_b64 v[80:81], v133
	ds_read_b64 v[76:77], v134
	;; [unrolled: 1-line block ×4, first 2 shown]
	v_add_u32_e32 v4, 0x2000, v123
	ds_read2_b64 v[40:43], v4 offset0:12 offset1:68
	ds_read_b64 v[78:79], v147
	ds_read_b64 v[74:75], v124
	s_and_saveexec_b64 s[4:5], s[0:1]
	s_cbranch_execz .LBB0_31
; %bb.30:
	ds_read_b64 v[44:45], v123 offset:4480
	ds_read_b64 v[46:47], v123 offset:9184
.LBB0_31:
	s_or_b64 exec, exec, s[4:5]
	v_and_b32_e32 v82, 3, v120
	v_lshlrev_b32_e32 v4, 4, v82
	global_load_dwordx4 v[4:7], v4, s[8:9] offset:32
	s_movk_i32 s10, 0x1f8
	s_movk_i32 s11, 0x3f8
	;; [unrolled: 1-line block ×3, first 2 shown]
	v_and_or_b32 v90, v139, s10, v82
	v_and_or_b32 v91, v140, s11, v82
	s_movk_i32 s4, 0x78
	s_movk_i32 s5, 0xf8
	v_and_or_b32 v92, v141, s12, v82
	v_and_or_b32 v93, v142, s11, v82
	v_lshl_add_u32 v95, v90, 3, 0
	v_lshl_add_u32 v96, v91, 3, 0
	s_movk_i32 s13, 0x7f8
	v_and_or_b32 v83, v136, s4, v82
	v_and_or_b32 v84, v137, s5, v82
	;; [unrolled: 1-line block ×4, first 2 shown]
	v_lshl_add_u32 v97, v92, 3, 0
	v_lshl_add_u32 v98, v93, 3, 0
	v_and_or_b32 v100, v144, s11, v82
	v_and_or_b32 v101, v145, s13, v82
	v_lshl_add_u32 v83, v83, 3, 0
	v_lshl_add_u32 v84, v84, 3, 0
	;; [unrolled: 1-line block ×6, first 2 shown]
	s_waitcnt lgkmcnt(0)
	; wave barrier
	s_waitcnt vmcnt(0) lgkmcnt(0)
	v_mul_f64 v[90:91], v[28:29], v[6:7]
	v_mul_f64 v[92:93], v[30:31], v[6:7]
	;; [unrolled: 1-line block ×10, first 2 shown]
	v_fmac_f64_e32 v[90:91], v[12:13], v[4:5]
	v_fmac_f64_e32 v[92:93], v[14:15], v[4:5]
	;; [unrolled: 1-line block ×10, first 2 shown]
	v_add_f64 v[90:91], v[54:55], -v[90:91]
	v_add_f64 v[92:93], v[58:59], -v[92:93]
	;; [unrolled: 1-line block ×10, first 2 shown]
	v_fma_f64 v[54:55], v[54:55], 2.0, -v[90:91]
	v_fma_f64 v[58:59], v[58:59], 2.0, -v[92:93]
	;; [unrolled: 1-line block ×10, first 2 shown]
	ds_write2_b64 v83, v[54:55], v[90:91] offset1:4
	ds_write2_b64 v84, v[58:59], v[92:93] offset1:4
	;; [unrolled: 1-line block ×10, first 2 shown]
	s_and_saveexec_b64 s[4:5], s[0:1]
	s_cbranch_execz .LBB0_33
; %bb.32:
	s_movk_i32 s10, 0x4f8
	v_and_or_b32 v54, v146, s10, v82
	v_lshl_add_u32 v58, v54, 3, 0
	v_mul_f64 v[54:55], v[46:47], v[6:7]
	v_fmac_f64_e32 v[54:55], v[56:57], v[4:5]
	v_add_f64 v[54:55], v[52:53], -v[54:55]
	v_fma_f64 v[52:53], v[52:53], 2.0, -v[54:55]
	ds_write2_b64 v58, v[52:53], v[54:55] offset1:4
.LBB0_33:
	s_or_b64 exec, exec, s[4:5]
	v_mul_f64 v[8:9], v[8:9], v[6:7]
	v_mul_f64 v[12:13], v[12:13], v[6:7]
	v_fma_f64 v[0:1], v[0:1], v[4:5], -v[8:9]
	v_mul_f64 v[8:9], v[10:11], v[6:7]
	v_fma_f64 v[12:13], v[28:29], v[4:5], -v[12:13]
	v_fma_f64 v[2:3], v[2:3], v[4:5], -v[8:9]
	v_mul_f64 v[8:9], v[20:21], v[6:7]
	v_mul_f64 v[10:11], v[22:23], v[6:7]
	v_mul_f64 v[16:17], v[16:17], v[6:7]
	v_mul_f64 v[18:19], v[18:19], v[6:7]
	v_mul_f64 v[20:21], v[24:25], v[6:7]
	v_mul_f64 v[14:15], v[14:15], v[6:7]
	v_fma_f64 v[8:9], v[36:37], v[4:5], -v[8:9]
	v_fma_f64 v[10:11], v[38:39], v[4:5], -v[10:11]
	;; [unrolled: 1-line block ×5, first 2 shown]
	v_mul_f64 v[22:23], v[26:27], v[6:7]
	v_add_f64 v[40:41], v[68:69], -v[12:13]
	v_add_u32_e32 v90, 0x1400, v123
	v_add_u32_e32 v92, 0x1800, v123
	;; [unrolled: 1-line block ×3, first 2 shown]
	v_fma_f64 v[14:15], v[30:31], v[4:5], -v[14:15]
	v_fma_f64 v[22:23], v[42:43], v[4:5], -v[22:23]
	v_fma_f64 v[42:43], v[68:69], 2.0, -v[40:41]
	v_add_f64 v[66:67], v[50:51], -v[0:1]
	v_add_f64 v[68:69], v[48:49], -v[2:3]
	v_add_f64 v[70:71], v[80:81], -v[8:9]
	v_add_f64 v[86:87], v[76:77], -v[10:11]
	v_add_f64 v[88:89], v[72:73], -v[16:17]
	v_add_f64 v[102:103], v[64:65], -v[18:19]
	s_waitcnt lgkmcnt(0)
	; wave barrier
	s_waitcnt lgkmcnt(0)
	ds_read2st64_b64 v[0:3], v123 offset1:7
	ds_read2_b64 v[8:11], v90 offset0:88 offset1:144
	ds_read2_b64 v[28:31], v92 offset0:72 offset1:128
	;; [unrolled: 1-line block ×4, first 2 shown]
	ds_read_b64 v[54:55], v125
	ds_read_b64 v[52:53], v126
	ds_read_b64 v[38:39], v128
	ds_read_b64 v[36:37], v133
	v_add_u32_e32 v94, 0x1000, v123
	v_add_u32_e32 v93, 0x2000, v123
	v_add_f64 v[62:63], v[60:61], -v[14:15]
	v_add_f64 v[104:105], v[78:79], -v[20:21]
	;; [unrolled: 1-line block ×3, first 2 shown]
	ds_read2_b64 v[20:23], v94 offset0:104 offset1:160
	ds_read_b64 v[34:35], v134
	ds_read2_b64 v[12:15], v93 offset0:40 offset1:96
	ds_read_b64 v[58:59], v135
	ds_read_b64 v[32:33], v127
	v_fma_f64 v[60:61], v[60:61], 2.0, -v[62:63]
	v_fma_f64 v[50:51], v[50:51], 2.0, -v[66:67]
	;; [unrolled: 1-line block ×9, first 2 shown]
	s_waitcnt lgkmcnt(0)
	; wave barrier
	s_waitcnt lgkmcnt(0)
	ds_write2_b64 v83, v[42:43], v[40:41] offset1:4
	ds_write2_b64 v84, v[60:61], v[62:63] offset1:4
	ds_write2_b64 v85, v[50:51], v[66:67] offset1:4
	ds_write2_b64 v95, v[48:49], v[68:69] offset1:4
	ds_write2_b64 v96, v[80:81], v[70:71] offset1:4
	ds_write2_b64 v97, v[76:77], v[86:87] offset1:4
	ds_write2_b64 v98, v[72:73], v[88:89] offset1:4
	ds_write2_b64 v99, v[64:65], v[102:103] offset1:4
	ds_write2_b64 v100, v[78:79], v[104:105] offset1:4
	ds_write2_b64 v101, v[74:75], v[106:107] offset1:4
	s_and_saveexec_b64 s[4:5], s[0:1]
	s_cbranch_execz .LBB0_35
; %bb.34:
	v_mul_f64 v[6:7], v[56:57], v[6:7]
	v_fma_f64 v[4:5], v[46:47], v[4:5], -v[6:7]
	s_movk_i32 s0, 0x4f8
	v_add_f64 v[4:5], v[44:45], -v[4:5]
	v_and_or_b32 v40, v146, s0, v82
	v_fma_f64 v[6:7], v[44:45], 2.0, -v[4:5]
	v_lshl_add_u32 v40, v40, 3, 0
	ds_write2_b64 v40, v[6:7], v[4:5] offset1:4
.LBB0_35:
	s_or_b64 exec, exec, s[4:5]
	v_and_b32_e32 v95, 7, v120
	v_lshlrev_b32_e32 v60, 5, v95
	s_waitcnt lgkmcnt(0)
	; wave barrier
	s_waitcnt lgkmcnt(0)
	ds_read2st64_b64 v[4:7], v123 offset1:7
	ds_read_b64 v[56:57], v135
	ds_read2_b64 v[96:99], v90 offset0:88 offset1:144
	ds_read_b64 v[40:41], v125
	ds_read2_b64 v[62:65], v92 offset0:72 offset1:128
	;; [unrolled: 2-line block ×6, first 2 shown]
	ds_read_b64 v[50:51], v127
	global_load_dwordx4 v[138:141], v60, s[8:9] offset:112
	global_load_dwordx4 v[142:145], v60, s[8:9] offset:96
	s_mov_b32 s0, 0xe8584caa
	s_mov_b32 s1, 0xbfebb67a
	;; [unrolled: 1-line block ×4, first 2 shown]
	s_waitcnt lgkmcnt(0)
	; wave barrier
	s_waitcnt lgkmcnt(0)
	v_mov_b32_e32 v118, 6
	s_mov_b32 s10, 0x37e14327
	s_mov_b32 s14, 0x36b3c0b5
	;; [unrolled: 1-line block ×15, first 2 shown]
	s_waitcnt vmcnt(1)
	v_mul_f64 v[74:75], v[62:63], v[140:141]
	s_waitcnt vmcnt(0)
	v_mul_f64 v[70:71], v[6:7], v[144:145]
	v_fmac_f64_e32 v[70:71], v[2:3], v[142:143]
	v_mul_f64 v[2:3], v[2:3], v[144:145]
	v_fma_f64 v[76:77], v[6:7], v[142:143], -v[2:3]
	v_mul_f64 v[2:3], v[28:29], v[140:141]
	v_fma_f64 v[80:81], v[62:63], v[138:139], -v[2:3]
	;; [unrolled: 2-line block ×5, first 2 shown]
	v_mul_f64 v[2:3], v[16:17], v[140:141]
	v_mul_f64 v[78:79], v[56:57], v[144:145]
	v_mul_f64 v[66:67], v[64:65], v[140:141]
	v_fma_f64 v[64:65], v[104:105], v[138:139], -v[2:3]
	v_mul_f64 v[2:3], v[20:21], v[144:145]
	v_fmac_f64_e32 v[78:79], v[58:59], v[142:143]
	v_mul_f64 v[58:59], v[58:59], v[144:145]
	v_fmac_f64_e32 v[74:75], v[28:29], v[138:139]
	v_mul_f64 v[62:63], v[100:101], v[144:145]
	v_fma_f64 v[28:29], v[114:115], v[142:143], -v[2:3]
	v_mul_f64 v[2:3], v[18:19], v[140:141]
	v_fma_f64 v[84:85], v[56:57], v[142:143], -v[58:59]
	v_fmac_f64_e32 v[62:63], v[24:25], v[142:143]
	v_mul_f64 v[58:59], v[104:105], v[140:141]
	v_mul_f64 v[24:25], v[114:115], v[144:145]
	v_fma_f64 v[56:57], v[106:107], v[138:139], -v[2:3]
	v_mul_f64 v[2:3], v[22:23], v[144:145]
	v_mul_f64 v[82:83], v[98:99], v[140:141]
	v_fmac_f64_e32 v[66:67], v[30:31], v[138:139]
	v_mul_f64 v[30:31], v[102:103], v[144:145]
	v_fmac_f64_e32 v[58:59], v[16:17], v[138:139]
	v_fmac_f64_e32 v[24:25], v[20:21], v[142:143]
	v_mul_f64 v[16:17], v[116:117], v[144:145]
	v_fma_f64 v[20:21], v[116:117], v[142:143], -v[2:3]
	v_mul_f64 v[2:3], v[12:13], v[140:141]
	v_mul_f64 v[6:7], v[96:97], v[144:145]
	v_fmac_f64_e32 v[82:83], v[10:11], v[138:139]
	v_mul_f64 v[10:11], v[10:11], v[140:141]
	v_fmac_f64_e32 v[30:31], v[26:27], v[142:143]
	;; [unrolled: 2-line block ×3, first 2 shown]
	v_fma_f64 v[22:23], v[134:135], v[138:139], -v[2:3]
	v_fmac_f64_e32 v[6:7], v[8:9], v[142:143]
	v_mul_f64 v[2:3], v[8:9], v[144:145]
	v_mul_f64 v[8:9], v[136:137], v[140:141]
	v_fma_f64 v[86:87], v[98:99], v[138:139], -v[10:11]
	v_fmac_f64_e32 v[26:27], v[18:19], v[138:139]
	v_mul_f64 v[18:19], v[134:135], v[140:141]
	v_fma_f64 v[10:11], v[96:97], v[142:143], -v[2:3]
	v_fmac_f64_e32 v[8:9], v[14:15], v[138:139]
	v_mul_f64 v[2:3], v[14:15], v[140:141]
	v_add_f64 v[14:15], v[78:79], v[82:83]
	v_fmac_f64_e32 v[18:19], v[12:13], v[138:139]
	v_fma_f64 v[12:13], v[136:137], v[138:139], -v[2:3]
	v_add_f64 v[2:3], v[0:1], v[78:79]
	v_fmac_f64_e32 v[0:1], -0.5, v[14:15]
	v_add_f64 v[14:15], v[84:85], -v[86:87]
	v_fma_f64 v[88:89], s[0:1], v[14:15], v[0:1]
	v_fmac_f64_e32 v[0:1], s[4:5], v[14:15]
	v_add_f64 v[14:15], v[4:5], v[84:85]
	v_add_f64 v[96:97], v[14:15], v[86:87]
	;; [unrolled: 1-line block ×4, first 2 shown]
	v_fmac_f64_e32 v[4:5], -0.5, v[14:15]
	v_add_f64 v[14:15], v[78:79], -v[82:83]
	v_add_f64 v[82:83], v[70:71], v[74:75]
	v_fma_f64 v[78:79], s[4:5], v[14:15], v[4:5]
	v_fmac_f64_e32 v[4:5], s[0:1], v[14:15]
	v_add_f64 v[14:15], v[54:55], v[70:71]
	v_fmac_f64_e32 v[54:55], -0.5, v[82:83]
	v_add_f64 v[82:83], v[76:77], -v[80:81]
	v_fma_f64 v[84:85], s[0:1], v[82:83], v[54:55]
	v_fmac_f64_e32 v[54:55], s[4:5], v[82:83]
	v_add_f64 v[82:83], v[40:41], v[76:77]
	v_add_f64 v[76:77], v[76:77], v[80:81]
	v_fmac_f64_e32 v[40:41], -0.5, v[76:77]
	v_add_f64 v[70:71], v[70:71], -v[74:75]
	v_add_f64 v[76:77], v[62:63], v[66:67]
	v_add_f64 v[14:15], v[14:15], v[74:75]
	v_fma_f64 v[74:75], s[4:5], v[70:71], v[40:41]
	v_fmac_f64_e32 v[40:41], s[0:1], v[70:71]
	v_add_f64 v[70:71], v[52:53], v[62:63]
	v_fmac_f64_e32 v[52:53], -0.5, v[76:77]
	v_add_f64 v[76:77], v[68:69], -v[72:73]
	v_add_f64 v[82:83], v[82:83], v[80:81]
	v_fma_f64 v[80:81], s[0:1], v[76:77], v[52:53]
	v_fmac_f64_e32 v[52:53], s[4:5], v[76:77]
	v_add_f64 v[76:77], v[42:43], v[68:69]
	v_add_f64 v[68:69], v[68:69], v[72:73]
	v_fmac_f64_e32 v[42:43], -0.5, v[68:69]
	v_add_f64 v[62:63], v[62:63], -v[66:67]
	v_add_f64 v[68:69], v[30:31], v[58:59]
	v_add_f64 v[70:71], v[70:71], v[66:67]
	v_fma_f64 v[66:67], s[4:5], v[62:63], v[42:43]
	v_fmac_f64_e32 v[42:43], s[0:1], v[62:63]
	v_add_f64 v[62:63], v[38:39], v[30:31]
	v_fmac_f64_e32 v[38:39], -0.5, v[68:69]
	v_add_f64 v[68:69], v[60:61], -v[64:65]
	v_add_f64 v[76:77], v[76:77], v[72:73]
	v_fma_f64 v[72:73], s[0:1], v[68:69], v[38:39]
	v_fmac_f64_e32 v[38:39], s[4:5], v[68:69]
	v_add_f64 v[68:69], v[44:45], v[60:61]
	v_add_f64 v[60:61], v[60:61], v[64:65]
	;; [unrolled: 1-line block ×3, first 2 shown]
	v_fmac_f64_e32 v[44:45], -0.5, v[60:61]
	v_add_f64 v[30:31], v[30:31], -v[58:59]
	v_add_f64 v[58:59], v[24:25], v[26:27]
	v_fma_f64 v[60:61], s[4:5], v[30:31], v[44:45]
	v_fmac_f64_e32 v[44:45], s[0:1], v[30:31]
	v_add_f64 v[30:31], v[36:37], v[24:25]
	v_fmac_f64_e32 v[36:37], -0.5, v[58:59]
	v_add_f64 v[58:59], v[28:29], -v[56:57]
	v_add_f64 v[86:87], v[68:69], v[64:65]
	v_fma_f64 v[64:65], s[0:1], v[58:59], v[36:37]
	v_fmac_f64_e32 v[36:37], s[4:5], v[58:59]
	v_add_f64 v[58:59], v[46:47], v[28:29]
	v_add_f64 v[28:29], v[28:29], v[56:57]
	;; [unrolled: 1-line block ×3, first 2 shown]
	v_fmac_f64_e32 v[46:47], -0.5, v[28:29]
	v_add_f64 v[24:25], v[24:25], -v[26:27]
	v_add_f64 v[26:27], v[16:17], v[18:19]
	v_fma_f64 v[100:101], s[4:5], v[24:25], v[46:47]
	v_fmac_f64_e32 v[46:47], s[0:1], v[24:25]
	v_add_f64 v[24:25], v[34:35], v[16:17]
	v_fmac_f64_e32 v[34:35], -0.5, v[26:27]
	v_add_f64 v[26:27], v[20:21], -v[22:23]
	v_fma_f64 v[28:29], s[0:1], v[26:27], v[34:35]
	v_fmac_f64_e32 v[34:35], s[4:5], v[26:27]
	v_add_f64 v[26:27], v[48:49], v[20:21]
	v_add_f64 v[20:21], v[20:21], v[22:23]
	v_fmac_f64_e32 v[48:49], -0.5, v[20:21]
	v_add_f64 v[16:17], v[16:17], -v[18:19]
	v_add_f64 v[20:21], v[6:7], v[8:9]
	v_add_f64 v[24:25], v[24:25], v[18:19]
	v_fma_f64 v[18:19], s[4:5], v[16:17], v[48:49]
	v_fmac_f64_e32 v[48:49], s[0:1], v[16:17]
	v_add_f64 v[16:17], v[32:33], v[6:7]
	v_fmac_f64_e32 v[32:33], -0.5, v[20:21]
	v_add_f64 v[20:21], v[10:11], -v[12:13]
	v_add_f64 v[102:103], v[26:27], v[22:23]
	v_fma_f64 v[22:23], s[0:1], v[20:21], v[32:33]
	v_fmac_f64_e32 v[32:33], s[4:5], v[20:21]
	v_add_f64 v[20:21], v[50:51], v[10:11]
	v_add_f64 v[10:11], v[10:11], v[12:13]
	v_fmac_f64_e32 v[50:51], -0.5, v[10:11]
	v_add_f64 v[6:7], v[6:7], -v[8:9]
	v_fma_f64 v[104:105], s[4:5], v[6:7], v[50:51]
	v_fmac_f64_e32 v[50:51], s[0:1], v[6:7]
	v_lshrrev_b32_e32 v6, 3, v120
	v_mul_u32_u24_e32 v6, 24, v6
	v_or_b32_e32 v6, v6, v95
	v_lshl_add_u32 v6, v6, 3, 0
	ds_write2_b64 v6, v[2:3], v[88:89] offset1:8
	ds_write_b64 v6, v[0:1] offset:128
	v_lshrrev_b32_e32 v0, 3, v121
	v_mul_lo_u32 v0, v0, 24
	v_or_b32_e32 v0, v0, v95
	v_lshl_add_u32 v7, v0, 3, 0
	v_lshrrev_b32_e32 v0, 3, v122
	v_mul_lo_u32 v0, v0, 24
	v_or_b32_e32 v0, v0, v95
	ds_write2_b64 v7, v[14:15], v[84:85] offset1:8
	ds_write_b64 v7, v[54:55] offset:128
	v_lshl_add_u32 v54, v0, 3, 0
	v_lshrrev_b32_e32 v0, 3, v129
	v_mul_lo_u32 v0, v0, 24
	v_or_b32_e32 v0, v0, v95
	ds_write2_b64 v54, v[70:71], v[80:81] offset1:8
	ds_write_b64 v54, v[52:53] offset:128
	v_lshl_add_u32 v52, v0, 3, 0
	v_lshrrev_b32_e32 v0, 3, v130
	v_mul_lo_u32 v0, v0, 24
	v_or_b32_e32 v0, v0, v95
	v_lshl_add_u32 v53, v0, 3, 0
	v_lshrrev_b32_e32 v0, 3, v131
	v_mul_lo_u32 v0, v0, 24
	v_or_b32_e32 v0, v0, v95
	;; [unrolled: 4-line block ×3, first 2 shown]
	s_movk_i32 s0, 0xab
	v_add_f64 v[16:17], v[16:17], v[8:9]
	ds_write2_b64 v52, v[62:63], v[72:73] offset1:8
	ds_write_b64 v52, v[38:39] offset:128
	v_lshl_add_u32 v62, v0, 3, 0
	v_add_u32_e32 v95, 0x800, v123
	v_mul_lo_u16_sdwa v72, v120, s0 dst_sel:DWORD dst_unused:UNUSED_PAD src0_sel:BYTE_0 src1_sel:DWORD
	v_add_f64 v[98:99], v[58:59], v[56:57]
	v_add_f64 v[20:21], v[20:21], v[12:13]
	ds_write2_b64 v53, v[30:31], v[64:65] offset1:8
	ds_write_b64 v53, v[36:37] offset:128
	ds_write2_b64 v55, v[24:25], v[28:29] offset1:8
	ds_write_b64 v55, v[34:35] offset:128
	;; [unrolled: 2-line block ×3, first 2 shown]
	s_waitcnt lgkmcnt(0)
	; wave barrier
	s_waitcnt lgkmcnt(0)
	ds_read2_b64 v[0:3], v123 offset1:224
	ds_read_b64 v[80:81], v128
	ds_read_b64 v[106:107], v127
	;; [unrolled: 1-line block ×3, first 2 shown]
	ds_read2_b64 v[24:27], v94 offset0:104 offset1:160
	ds_read2_b64 v[56:59], v92 offset0:72 offset1:128
	;; [unrolled: 1-line block ×3, first 2 shown]
	ds_read_b64 v[68:69], v125
	ds_read2_b64 v[36:39], v95 offset0:24 offset1:136
	ds_read2_b64 v[32:35], v91 offset0:64 offset1:176
	;; [unrolled: 1-line block ×4, first 2 shown]
	ds_read_b64 v[64:65], v126
	s_waitcnt lgkmcnt(0)
	; wave barrier
	s_waitcnt lgkmcnt(0)
	ds_write2_b64 v6, v[96:97], v[78:79] offset1:8
	ds_write_b64 v6, v[4:5] offset:128
	ds_write2_b64 v7, v[82:83], v[74:75] offset1:8
	ds_write_b64 v7, v[40:41] offset:128
	;; [unrolled: 2-line block ×7, first 2 shown]
	v_lshrrev_b16_e32 v96, 12, v72
	v_mul_lo_u16_e32 v72, 24, v96
	v_sub_u16_e32 v97, v120, v72
	v_mul_u32_u24_sdwa v72, v97, v118 dst_sel:DWORD dst_unused:UNUSED_PAD src0_sel:BYTE_0 src1_sel:DWORD
	v_lshlrev_b32_e32 v114, 4, v72
	s_waitcnt lgkmcnt(0)
	; wave barrier
	s_waitcnt lgkmcnt(0)
	ds_read2_b64 v[4:7], v123 offset1:224
	ds_read_b64 v[78:79], v128
	ds_read_b64 v[102:103], v127
	;; [unrolled: 1-line block ×3, first 2 shown]
	ds_read2_b64 v[40:43], v94 offset0:104 offset1:160
	ds_read2_b64 v[60:63], v92 offset0:72 offset1:128
	;; [unrolled: 1-line block ×3, first 2 shown]
	ds_read_b64 v[70:71], v125
	ds_read2_b64 v[52:55], v95 offset0:24 offset1:136
	ds_read2_b64 v[48:51], v91 offset0:64 offset1:176
	ds_read2_b64 v[44:47], v90 offset0:88 offset1:144
	ds_read2_b64 v[20:23], v93 offset0:40 offset1:96
	ds_read_b64 v[66:67], v126
	global_load_dwordx4 v[86:89], v114, s[8:9] offset:400
	global_load_dwordx4 v[82:85], v114, s[8:9] offset:384
	;; [unrolled: 1-line block ×4, first 2 shown]
	s_mov_b32 s4, 0x5476071b
	s_mov_b32 s5, 0x3fe77f67
	;; [unrolled: 1-line block ×3, first 2 shown]
	s_waitcnt vmcnt(0) lgkmcnt(11)
	v_mul_f64 v[72:73], v[78:79], v[76:77]
	v_mul_f64 v[76:77], v[80:81], v[76:77]
	v_fma_f64 v[78:79], v[78:79], v[74:75], -v[76:77]
	v_mul_f64 v[76:77], v[106:107], v[100:101]
	v_fmac_f64_e32 v[72:73], v[80:81], v[74:75]
	s_waitcnt lgkmcnt(10)
	v_mul_f64 v[74:75], v[102:103], v[100:101]
	v_fma_f64 v[80:81], v[102:103], v[98:99], -v[76:77]
	s_waitcnt lgkmcnt(9)
	v_mul_f64 v[76:77], v[104:105], v[84:85]
	v_mul_f64 v[84:85], v[108:109], v[84:85]
	v_fmac_f64_e32 v[74:75], v[106:107], v[98:99]
	v_fmac_f64_e32 v[76:77], v[108:109], v[82:83]
	v_fma_f64 v[82:83], v[104:105], v[82:83], -v[84:85]
	global_load_dwordx4 v[98:101], v114, s[8:9] offset:432
	global_load_dwordx4 v[102:105], v114, s[8:9] offset:416
	s_waitcnt lgkmcnt(8)
	v_mul_f64 v[84:85], v[42:43], v[88:89]
	v_fmac_f64_e32 v[84:85], v[26:27], v[86:87]
	v_mul_f64 v[26:27], v[26:27], v[88:89]
	v_fma_f64 v[26:27], v[42:43], v[86:87], -v[26:27]
	s_waitcnt vmcnt(0) lgkmcnt(7)
	v_mul_f64 v[86:87], v[60:61], v[104:105]
	v_mul_f64 v[42:43], v[56:57], v[104:105]
	v_fmac_f64_e32 v[86:87], v[56:57], v[102:103]
	v_fma_f64 v[56:57], v[60:61], v[102:103], -v[42:43]
	s_waitcnt lgkmcnt(6)
	v_mul_f64 v[60:61], v[18:19], v[100:101]
	v_fmac_f64_e32 v[60:61], v[10:11], v[98:99]
	v_mul_f64 v[10:11], v[10:11], v[100:101]
	v_fma_f64 v[88:89], v[18:19], v[98:99], -v[10:11]
	v_mul_lo_u16_sdwa v10, v121, s0 dst_sel:DWORD dst_unused:UNUSED_PAD src0_sel:BYTE_0 src1_sel:DWORD
	v_lshrrev_b16_e32 v98, 12, v10
	v_mul_lo_u16_e32 v10, 24, v98
	v_sub_u16_e32 v99, v121, v10
	v_mul_u32_u24_sdwa v10, v99, v118 dst_sel:DWORD dst_unused:UNUSED_PAD src0_sel:BYTE_0 src1_sel:DWORD
	v_lshlrev_b32_e32 v108, 4, v10
	global_load_dwordx4 v[100:103], v108, s[8:9] offset:400
	global_load_dwordx4 v[104:107], v108, s[8:9] offset:384
	;; [unrolled: 1-line block ×4, first 2 shown]
	s_waitcnt vmcnt(3) lgkmcnt(2)
	v_mul_f64 v[42:43], v[44:45], v[102:103]
	v_fmac_f64_e32 v[42:43], v[28:29], v[100:101]
	v_mul_f64 v[28:29], v[28:29], v[102:103]
	s_waitcnt vmcnt(0)
	v_mul_f64 v[10:11], v[6:7], v[132:133]
	v_fmac_f64_e32 v[10:11], v[2:3], v[130:131]
	v_mul_f64 v[2:3], v[2:3], v[132:133]
	v_fma_f64 v[18:19], v[6:7], v[130:131], -v[2:3]
	v_mul_f64 v[2:3], v[54:55], v[116:117]
	v_mul_f64 v[6:7], v[38:39], v[116:117]
	v_fmac_f64_e32 v[2:3], v[38:39], v[114:115]
	v_fma_f64 v[38:39], v[54:55], v[114:115], -v[6:7]
	v_mul_f64 v[6:7], v[50:51], v[106:107]
	v_fmac_f64_e32 v[6:7], v[34:35], v[104:105]
	v_mul_f64 v[34:35], v[34:35], v[106:107]
	v_fma_f64 v[34:35], v[50:51], v[104:105], -v[34:35]
	v_fma_f64 v[28:29], v[44:45], v[100:101], -v[28:29]
	global_load_dwordx4 v[100:103], v108, s[8:9] offset:432
	global_load_dwordx4 v[104:107], v108, s[8:9] offset:416
	s_waitcnt vmcnt(1) lgkmcnt(1)
	v_mul_f64 v[54:55], v[20:21], v[102:103]
	s_waitcnt vmcnt(0)
	v_mul_f64 v[44:45], v[62:63], v[106:107]
	v_fmac_f64_e32 v[54:55], v[12:13], v[100:101]
	v_mul_f64 v[12:13], v[12:13], v[102:103]
	v_fmac_f64_e32 v[44:45], v[58:59], v[104:105]
	v_mul_f64 v[50:51], v[58:59], v[106:107]
	v_fma_f64 v[58:59], v[20:21], v[100:101], -v[12:13]
	v_mul_lo_u16_sdwa v12, v122, s0 dst_sel:DWORD dst_unused:UNUSED_PAD src0_sel:BYTE_0 src1_sel:DWORD
	v_fma_f64 v[50:51], v[62:63], v[104:105], -v[50:51]
	v_lshrrev_b16_e32 v62, 12, v12
	v_mul_lo_u16_e32 v12, 24, v62
	v_sub_u16_e32 v63, v122, v12
	v_mul_u32_u24_sdwa v12, v63, v118 dst_sel:DWORD dst_unused:UNUSED_PAD src0_sel:BYTE_0 src1_sel:DWORD
	v_lshlrev_b32_e32 v108, 4, v12
	global_load_dwordx4 v[100:103], v108, s[8:9] offset:400
	global_load_dwordx4 v[104:107], v108, s[8:9] offset:384
	;; [unrolled: 1-line block ×4, first 2 shown]
	s_mov_b32 s0, 0x429ad128
	s_mov_b32 s1, 0xbfebfeb5
	s_waitcnt vmcnt(0)
	v_mul_f64 v[12:13], v[52:53], v[132:133]
	v_mul_f64 v[20:21], v[36:37], v[132:133]
	v_fmac_f64_e32 v[12:13], v[36:37], v[130:131]
	v_fma_f64 v[36:37], v[52:53], v[130:131], -v[20:21]
	v_mul_f64 v[20:21], v[48:49], v[116:117]
	v_fmac_f64_e32 v[20:21], v[32:33], v[114:115]
	v_mul_f64 v[32:33], v[32:33], v[116:117]
	v_fma_f64 v[48:49], v[48:49], v[114:115], -v[32:33]
	v_mul_f64 v[32:33], v[40:41], v[106:107]
	v_fmac_f64_e32 v[32:33], v[24:25], v[104:105]
	v_mul_f64 v[24:25], v[24:25], v[106:107]
	;; [unrolled: 4-line block ×3, first 2 shown]
	v_fma_f64 v[30:31], v[46:47], v[100:101], -v[30:31]
	global_load_dwordx4 v[100:103], v108, s[8:9] offset:432
	global_load_dwordx4 v[104:107], v108, s[8:9] offset:416
	v_add_f64 v[46:47], v[78:79], v[88:89]
	s_waitcnt lgkmcnt(0)
	; wave barrier
	s_waitcnt vmcnt(0) lgkmcnt(0)
	v_mul_f64 v[52:53], v[16:17], v[106:107]
	v_fmac_f64_e32 v[52:53], v[8:9], v[104:105]
	v_mul_f64 v[8:9], v[8:9], v[106:107]
	v_fma_f64 v[8:9], v[16:17], v[104:105], -v[8:9]
	v_mul_f64 v[16:17], v[22:23], v[102:103]
	v_fmac_f64_e32 v[16:17], v[14:15], v[100:101]
	v_mul_f64 v[14:15], v[14:15], v[102:103]
	v_fma_f64 v[14:15], v[22:23], v[100:101], -v[14:15]
	v_add_f64 v[22:23], v[72:73], v[60:61]
	v_add_f64 v[60:61], v[72:73], -v[60:61]
	v_add_f64 v[72:73], v[78:79], -v[88:89]
	v_add_f64 v[78:79], v[74:75], v[86:87]
	v_add_f64 v[88:89], v[80:81], v[56:57]
	v_add_f64 v[74:75], v[74:75], -v[86:87]
	v_add_f64 v[56:57], v[80:81], -v[56:57]
	v_add_f64 v[80:81], v[76:77], v[84:85]
	;; [unrolled: 4-line block ×3, first 2 shown]
	v_add_f64 v[84:85], v[88:89], v[46:47]
	v_add_f64 v[100:101], v[78:79], -v[22:23]
	v_add_f64 v[102:103], v[88:89], -v[46:47]
	v_add_f64 v[22:23], v[22:23], -v[80:81]
	v_add_f64 v[104:105], v[46:47], -v[86:87]
	v_add_f64 v[78:79], v[80:81], -v[78:79]
	v_add_f64 v[88:89], v[86:87], -v[88:89]
	v_add_f64 v[46:47], v[76:77], v[74:75]
	v_add_f64 v[106:107], v[26:27], v[56:57]
	v_add_f64 v[108:109], v[76:77], -v[74:75]
	v_add_f64 v[114:115], v[26:27], -v[56:57]
	v_add_f64 v[80:81], v[80:81], v[82:83]
	v_add_f64 v[82:83], v[86:87], v[84:85]
	v_add_f64 v[76:77], v[60:61], -v[76:77]
	v_add_f64 v[26:27], v[72:73], -v[26:27]
	;; [unrolled: 1-line block ×4, first 2 shown]
	v_add_f64 v[60:61], v[46:47], v[60:61]
	v_add_f64 v[72:73], v[106:107], v[72:73]
	;; [unrolled: 1-line block ×4, first 2 shown]
	v_mul_f64 v[4:5], v[22:23], s[10:11]
	v_mul_f64 v[22:23], v[104:105], s[10:11]
	;; [unrolled: 1-line block ×8, first 2 shown]
	v_fma_f64 v[80:81], s[24:25], v[80:81], v[0:1]
	v_fma_f64 v[82:83], s[24:25], v[82:83], v[46:47]
	v_fma_f64 v[84:85], v[100:101], s[4:5], -v[84:85]
	v_fma_f64 v[86:87], v[102:103], s[4:5], -v[86:87]
	;; [unrolled: 1-line block ×3, first 2 shown]
	v_fmac_f64_e32 v[4:5], s[14:15], v[78:79]
	v_fma_f64 v[78:79], v[102:103], s[18:19], -v[22:23]
	v_fmac_f64_e32 v[22:23], s[14:15], v[88:89]
	v_fma_f64 v[74:75], v[74:75], s[0:1], -v[104:105]
	;; [unrolled: 2-line block ×4, first 2 shown]
	v_add_f64 v[22:23], v[22:23], v[82:83]
	v_add_f64 v[84:85], v[84:85], v[80:81]
	;; [unrolled: 1-line block ×3, first 2 shown]
	v_fmac_f64_e32 v[104:105], s[20:21], v[60:61]
	v_fmac_f64_e32 v[74:75], s[20:21], v[60:61]
	;; [unrolled: 1-line block ×3, first 2 shown]
	v_fma_f64 v[76:77], v[76:77], s[22:23], -v[108:109]
	v_add_f64 v[4:5], v[4:5], v[80:81]
	v_add_f64 v[80:81], v[100:101], v[80:81]
	v_fmac_f64_e32 v[106:107], s[20:21], v[72:73]
	v_fmac_f64_e32 v[26:27], s[20:21], v[72:73]
	v_add_f64 v[72:73], v[22:23], -v[104:105]
	v_add_f64 v[100:101], v[84:85], -v[56:57]
	v_add_f64 v[102:103], v[74:75], v[86:87]
	v_add_f64 v[56:57], v[56:57], v[84:85]
	v_add_f64 v[84:85], v[86:87], -v[74:75]
	v_add_f64 v[86:87], v[104:105], v[22:23]
	v_add_f64 v[22:23], v[10:11], v[54:55]
	;; [unrolled: 1-line block ×3, first 2 shown]
	v_add_f64 v[10:11], v[10:11], -v[54:55]
	v_add_f64 v[18:19], v[18:19], -v[58:59]
	v_add_f64 v[54:55], v[2:3], v[44:45]
	v_add_f64 v[58:59], v[38:39], v[50:51]
	;; [unrolled: 1-line block ×3, first 2 shown]
	v_fmac_f64_e32 v[76:77], s[20:21], v[60:61]
	v_add_f64 v[2:3], v[2:3], -v[44:45]
	v_add_f64 v[38:39], v[38:39], -v[50:51]
	v_add_f64 v[44:45], v[6:7], v[42:43]
	v_add_f64 v[50:51], v[34:35], v[28:29]
	v_add_f64 v[6:7], v[42:43], -v[6:7]
	v_add_f64 v[28:29], v[28:29], -v[34:35]
	v_add_f64 v[34:35], v[54:55], v[22:23]
	v_add_f64 v[42:43], v[58:59], v[74:75]
	;; [unrolled: 1-line block ×4, first 2 shown]
	v_add_f64 v[88:89], v[78:79], -v[76:77]
	v_add_f64 v[26:27], v[80:81], -v[26:27]
	v_add_f64 v[80:81], v[76:77], v[78:79]
	v_add_f64 v[4:5], v[4:5], -v[106:107]
	v_add_f64 v[76:77], v[54:55], -v[22:23]
	;; [unrolled: 1-line block ×7, first 2 shown]
	v_add_f64 v[104:105], v[6:7], v[2:3]
	v_add_f64 v[106:107], v[28:29], v[38:39]
	v_add_f64 v[108:109], v[6:7], -v[2:3]
	v_add_f64 v[114:115], v[28:29], -v[38:39]
	;; [unrolled: 1-line block ×4, first 2 shown]
	v_add_f64 v[34:35], v[44:45], v[34:35]
	v_add_f64 v[42:43], v[50:51], v[42:43]
	v_add_f64 v[6:7], v[10:11], -v[6:7]
	v_add_f64 v[28:29], v[18:19], -v[28:29]
	v_add_f64 v[10:11], v[104:105], v[10:11]
	v_add_f64 v[18:19], v[106:107], v[18:19]
	;; [unrolled: 1-line block ×4, first 2 shown]
	v_mul_f64 v[22:23], v[22:23], s[10:11]
	v_mul_f64 v[68:69], v[74:75], s[10:11]
	;; [unrolled: 1-line block ×8, first 2 shown]
	v_fma_f64 v[34:35], s[24:25], v[34:35], v[44:45]
	v_fma_f64 v[42:43], s[24:25], v[42:43], v[50:51]
	v_fma_f64 v[70:71], v[76:77], s[4:5], -v[70:71]
	v_fma_f64 v[74:75], v[78:79], s[4:5], -v[74:75]
	;; [unrolled: 1-line block ×3, first 2 shown]
	v_fmac_f64_e32 v[22:23], s[14:15], v[54:55]
	v_fma_f64 v[54:55], v[78:79], s[18:19], -v[68:69]
	v_fmac_f64_e32 v[68:69], s[14:15], v[58:59]
	v_fma_f64 v[2:3], v[2:3], s[0:1], -v[104:105]
	;; [unrolled: 2-line block ×4, first 2 shown]
	v_fma_f64 v[28:29], v[28:29], s[22:23], -v[114:115]
	v_add_f64 v[22:23], v[22:23], v[34:35]
	v_add_f64 v[58:59], v[68:69], v[42:43]
	;; [unrolled: 1-line block ×6, first 2 shown]
	v_fmac_f64_e32 v[106:107], s[20:21], v[18:19]
	v_fmac_f64_e32 v[2:3], s[20:21], v[10:11]
	;; [unrolled: 1-line block ×6, first 2 shown]
	v_add_f64 v[10:11], v[106:107], v[22:23]
	v_add_f64 v[18:19], v[28:29], v[34:35]
	v_add_f64 v[108:109], v[42:43], -v[6:7]
	v_add_f64 v[74:75], v[68:69], -v[38:39]
	v_add_f64 v[114:115], v[2:3], v[70:71]
	v_add_f64 v[38:39], v[38:39], v[68:69]
	v_add_f64 v[68:69], v[70:71], -v[2:3]
	v_add_f64 v[2:3], v[34:35], -v[28:29]
	v_add_f64 v[34:35], v[6:7], v[42:43]
	v_add_f64 v[6:7], v[22:23], -v[106:107]
	v_add_f64 v[22:23], v[12:13], v[16:17]
	v_add_f64 v[28:29], v[36:37], v[14:15]
	v_add_f64 v[12:13], v[12:13], -v[16:17]
	v_add_f64 v[14:15], v[36:37], -v[14:15]
	v_add_f64 v[16:17], v[20:21], v[52:53]
	v_add_f64 v[36:37], v[48:49], v[8:9]
	v_add_f64 v[20:21], v[20:21], -v[52:53]
	;; [unrolled: 4-line block ×4, first 2 shown]
	v_add_f64 v[42:43], v[104:105], v[58:59]
	v_add_f64 v[58:59], v[16:17], -v[22:23]
	v_add_f64 v[70:71], v[36:37], -v[28:29]
	;; [unrolled: 1-line block ×5, first 2 shown]
	v_add_f64 v[76:77], v[32:33], v[20:21]
	v_add_f64 v[78:79], v[24:25], v[8:9]
	v_add_f64 v[104:105], v[32:33], -v[20:21]
	v_add_f64 v[106:107], v[24:25], -v[8:9]
	v_add_f64 v[20:21], v[20:21], -v[12:13]
	v_add_f64 v[30:31], v[48:49], v[30:31]
	v_add_f64 v[40:41], v[52:53], v[40:41]
	v_add_f64 v[36:37], v[52:53], -v[36:37]
	v_add_f64 v[32:33], v[12:13], -v[32:33]
	;; [unrolled: 1-line block ×4, first 2 shown]
	v_add_f64 v[12:13], v[76:77], v[12:13]
	v_add_f64 v[14:15], v[78:79], v[14:15]
	;; [unrolled: 1-line block ×4, first 2 shown]
	v_mul_f64 v[22:23], v[22:23], s[10:11]
	v_mul_f64 v[28:29], v[28:29], s[10:11]
	;; [unrolled: 1-line block ×8, first 2 shown]
	v_fma_f64 v[30:31], s[24:25], v[30:31], v[48:49]
	v_fma_f64 v[40:41], s[24:25], v[40:41], v[52:53]
	v_fma_f64 v[64:65], v[58:59], s[4:5], -v[64:65]
	v_fma_f64 v[58:59], v[58:59], s[18:19], -v[22:23]
	v_fmac_f64_e32 v[22:23], s[14:15], v[16:17]
	v_fma_f64 v[16:17], v[70:71], s[18:19], -v[28:29]
	v_fma_f64 v[20:21], v[20:21], s[0:1], -v[76:77]
	v_fmac_f64_e32 v[76:77], s[26:27], v[32:33]
	v_fma_f64 v[8:9], v[8:9], s[0:1], -v[78:79]
	v_fmac_f64_e32 v[78:79], s[26:27], v[24:25]
	v_fma_f64 v[32:33], v[32:33], s[22:23], -v[104:105]
	v_fma_f64 v[66:67], v[70:71], s[4:5], -v[66:67]
	;; [unrolled: 1-line block ×3, first 2 shown]
	v_add_f64 v[22:23], v[22:23], v[30:31]
	v_add_f64 v[16:17], v[16:17], v[40:41]
	v_fmac_f64_e32 v[78:79], s[20:21], v[14:15]
	v_fmac_f64_e32 v[32:33], s[20:21], v[12:13]
	v_fmac_f64_e32 v[28:29], s[14:15], v[36:37]
	v_add_f64 v[36:37], v[64:65], v[30:31]
	v_add_f64 v[64:65], v[66:67], v[40:41]
	;; [unrolled: 1-line block ×3, first 2 shown]
	v_fmac_f64_e32 v[76:77], s[20:21], v[12:13]
	v_fmac_f64_e32 v[20:21], s[20:21], v[12:13]
	v_fmac_f64_e32 v[8:9], s[20:21], v[14:15]
	v_fmac_f64_e32 v[24:25], s[20:21], v[14:15]
	v_add_f64 v[12:13], v[78:79], v[22:23]
	v_add_f64 v[58:59], v[16:17], -v[32:33]
	v_add_f64 v[32:33], v[32:33], v[16:17]
	v_add_f64 v[16:17], v[22:23], -v[78:79]
	v_mov_b32_e32 v23, 3
	v_add_f64 v[14:15], v[24:25], v[30:31]
	v_add_f64 v[66:67], v[36:37], -v[8:9]
	v_add_f64 v[70:71], v[20:21], v[64:65]
	v_add_f64 v[8:9], v[8:9], v[36:37]
	v_add_f64 v[36:37], v[64:65], -v[20:21]
	v_add_f64 v[20:21], v[30:31], -v[24:25]
	v_mul_u32_u24_e32 v22, 0x540, v96
	v_lshlrev_b32_sdwa v24, v23, v97 dst_sel:DWORD dst_unused:UNUSED_PAD src0_sel:DWORD src1_sel:BYTE_0
	v_add3_u32 v96, 0, v22, v24
	ds_write2_b64 v96, v[0:1], v[60:61] offset1:24
	ds_write2_b64 v96, v[82:83], v[100:101] offset0:48 offset1:72
	ds_write2_b64 v96, v[56:57], v[26:27] offset0:96 offset1:120
	ds_write_b64 v96, v[4:5] offset:1152
	v_mul_u32_u24_e32 v0, 0x540, v98
	v_lshlrev_b32_sdwa v1, v23, v99 dst_sel:DWORD dst_unused:UNUSED_PAD src0_sel:DWORD src1_sel:BYTE_0
	v_add3_u32 v56, 0, v0, v1
	v_mul_u32_u24_e32 v0, 0x540, v62
	v_lshlrev_b32_sdwa v1, v23, v63 dst_sel:DWORD dst_unused:UNUSED_PAD src0_sel:DWORD src1_sel:BYTE_0
	v_add_f64 v[28:29], v[28:29], v[40:41]
	ds_write2_b64 v56, v[44:45], v[10:11] offset1:24
	ds_write2_b64 v56, v[18:19], v[74:75] offset0:48 offset1:72
	ds_write2_b64 v56, v[38:39], v[2:3] offset0:96 offset1:120
	ds_write_b64 v56, v[6:7] offset:1152
	v_add3_u32 v38, 0, v0, v1
	v_add_f64 v[40:41], v[28:29], -v[76:77]
	v_add_f64 v[64:65], v[76:77], v[28:29]
	ds_write2_b64 v38, v[48:49], v[12:13] offset1:24
	ds_write2_b64 v38, v[14:15], v[66:67] offset0:48 offset1:72
	ds_write2_b64 v38, v[8:9], v[20:21] offset0:96 offset1:120
	ds_write_b64 v38, v[16:17] offset:1152
	s_waitcnt lgkmcnt(0)
	; wave barrier
	s_waitcnt lgkmcnt(0)
	ds_read2_b64 v[0:3], v123 offset1:224
	ds_read_b64 v[78:79], v128
	ds_read_b64 v[76:77], v127
	;; [unrolled: 1-line block ×3, first 2 shown]
	ds_read2_b64 v[4:7], v94 offset0:104 offset1:160
	ds_read2_b64 v[8:11], v92 offset0:72 offset1:128
	;; [unrolled: 1-line block ×3, first 2 shown]
	ds_read_b64 v[60:61], v125
	ds_read2_b64 v[24:27], v95 offset0:24 offset1:136
	ds_read2_b64 v[20:23], v91 offset0:64 offset1:176
	;; [unrolled: 1-line block ×4, first 2 shown]
	ds_read_b64 v[66:67], v126
	s_waitcnt lgkmcnt(0)
	; wave barrier
	s_waitcnt lgkmcnt(0)
	ds_write2_b64 v96, v[46:47], v[72:73] offset1:24
	ds_write2_b64 v96, v[88:89], v[102:103] offset0:48 offset1:72
	ds_write2_b64 v96, v[84:85], v[80:81] offset0:96 offset1:120
	ds_write_b64 v96, v[86:87] offset:1152
	ds_write2_b64 v56, v[50:51], v[54:55] offset1:24
	ds_write2_b64 v56, v[108:109], v[114:115] offset0:48 offset1:72
	ds_write2_b64 v56, v[68:69], v[34:35] offset0:96 offset1:120
	ds_write_b64 v56, v[42:43] offset:1152
	;; [unrolled: 4-line block ×3, first 2 shown]
	s_waitcnt lgkmcnt(0)
	; wave barrier
	s_waitcnt lgkmcnt(0)
	s_and_saveexec_b64 s[28:29], vcc
	s_cbranch_execz .LBB0_37
; %bb.36:
	v_mul_i32_i24_e32 v80, 6, v122
	v_mov_b32_e32 v81, 0
	v_lshl_add_u64 v[32:33], v[80:81], 4, s[8:9]
	global_load_dwordx4 v[36:39], v[32:33], off offset:2656
	global_load_dwordx4 v[52:55], v[32:33], off offset:2736
	;; [unrolled: 1-line block ×6, first 2 shown]
	v_mul_i32_i24_e32 v80, 6, v121
	v_mul_lo_u32 v62, s3, v112
	v_mul_lo_u32 v63, s2, v113
	v_mad_u64_u32 v[72:73], s[2:3], s2, v112, 0
	v_add_u32_e32 v64, 0x2000, v123
	v_add_u32_e32 v65, 0x1400, v123
	;; [unrolled: 1-line block ×4, first 2 shown]
	v_lshl_add_u64 v[80:81], v[80:81], 4, s[8:9]
	ds_read2_b64 v[32:35], v95 offset0:24 offset1:136
	v_add_u32_e32 v86, 0x1800, v123
	ds_read_b64 v[82:83], v128
	ds_read_b64 v[84:85], v127
	;; [unrolled: 1-line block ×4, first 2 shown]
	v_add3_u32 v73, v73, v63, v62
	ds_read2_b64 v[88:91], v64 offset0:40 offset1:96
	ds_read2_b64 v[92:95], v65 offset0:88 offset1:144
	;; [unrolled: 1-line block ×5, first 2 shown]
	global_load_dwordx4 v[100:103], v[80:81], off offset:2704
	global_load_dwordx4 v[104:107], v[80:81], off offset:2688
	;; [unrolled: 1-line block ×6, first 2 shown]
	s_mov_b32 s2, 0x18618619
	s_movk_i32 s3, 0xa8
	s_waitcnt vmcnt(11) lgkmcnt(9)
	v_mul_f64 v[80:81], v[38:39], v[32:33]
	s_waitcnt vmcnt(10) lgkmcnt(4)
	v_mul_f64 v[134:135], v[54:55], v[90:91]
	;; [unrolled: 2-line block ×6, first 2 shown]
	v_mul_f64 v[54:55], v[30:31], v[54:55]
	v_mul_f64 v[38:39], v[24:25], v[38:39]
	v_mul_f64 v[58:59], v[12:13], v[58:59]
	v_mul_f64 v[50:51], v[20:21], v[50:51]
	v_fmac_f64_e32 v[80:81], v[24:25], v[36:37]
	v_fmac_f64_e32 v[134:135], v[30:31], v[52:53]
	;; [unrolled: 1-line block ×4, first 2 shown]
	v_mul_f64 v[46:47], v[4:5], v[46:47]
	v_mul_f64 v[42:43], v[18:19], v[42:43]
	v_fmac_f64_e32 v[136:137], v[18:19], v[40:41]
	v_fmac_f64_e32 v[140:141], v[4:5], v[44:45]
	v_fma_f64 v[4:5], v[52:53], v[90:91], -v[54:55]
	v_fma_f64 v[12:13], v[36:37], v[32:33], -v[38:39]
	;; [unrolled: 1-line block ×4, first 2 shown]
	v_add_f64 v[48:49], v[80:81], v[134:135]
	v_add_f64 v[50:51], v[142:143], v[144:145]
	v_fma_f64 v[30:31], v[44:45], v[62:63], -v[46:47]
	v_fma_f64 v[32:33], v[40:41], v[94:95], -v[42:43]
	v_add_f64 v[36:37], v[80:81], -v[134:135]
	v_add_f64 v[20:21], v[136:137], -v[140:141]
	;; [unrolled: 1-line block ×3, first 2 shown]
	v_add_f64 v[44:45], v[12:13], v[4:5]
	v_add_f64 v[46:47], v[24:25], v[18:19]
	;; [unrolled: 1-line block ×5, first 2 shown]
	v_add_f64 v[54:55], v[36:37], -v[20:21]
	v_add_f64 v[42:43], v[20:21], -v[38:39]
	v_add_f64 v[20:21], v[20:21], v[38:39]
	v_add_f64 v[56:57], v[44:45], v[46:47]
	;; [unrolled: 1-line block ×3, first 2 shown]
	v_add_f64 v[58:59], v[44:45], -v[40:41]
	v_add_f64 v[62:63], v[40:41], -v[46:47]
	v_add_f64 v[90:91], v[36:37], v[20:21]
	v_add_f64 v[20:21], v[40:41], v[56:57]
	;; [unrolled: 1-line block ×3, first 2 shown]
	v_mov_b64_e32 v[94:95], v[40:41]
	v_add_f64 v[4:5], v[12:13], -v[4:5]
	v_add_f64 v[12:13], v[32:33], -v[30:31]
	v_add_f64 v[24:25], v[24:25], -v[18:19]
	v_mul_f64 v[80:81], v[42:43], s[12:13]
	v_add_f64 v[42:43], v[108:109], v[20:21]
	v_fmac_f64_e32 v[94:95], s[24:25], v[68:69]
	v_add_f64 v[68:69], v[48:49], -v[52:53]
	v_add_f64 v[52:53], v[52:53], -v[50:51]
	;; [unrolled: 1-line block ×4, first 2 shown]
	v_mul_f64 v[56:57], v[58:59], s[10:11]
	v_mul_f64 v[62:63], v[62:63], s[14:15]
	v_mov_b64_e32 v[66:67], v[42:43]
	v_mul_f64 v[96:97], v[68:69], s[10:11]
	v_mul_f64 v[52:53], v[52:53], s[14:15]
	v_add_f64 v[30:31], v[4:5], -v[12:13]
	v_mul_f64 v[108:109], v[18:19], s[12:13]
	v_add_f64 v[12:13], v[12:13], v[24:25]
	v_mul_f64 v[32:33], v[36:37], s[0:1]
	v_add_f64 v[38:39], v[46:47], -v[44:45]
	v_add_f64 v[44:45], v[50:51], -v[48:49]
	v_fma_f64 v[134:135], s[26:27], v[54:55], v[80:81]
	v_fma_f64 v[58:59], s[10:11], v[58:59], v[62:63]
	v_fmac_f64_e32 v[66:67], s[24:25], v[20:21]
	v_fma_f64 v[68:69], s[10:11], v[68:69], v[52:53]
	v_fma_f64 v[136:137], s[26:27], v[30:31], v[108:109]
	v_add_f64 v[12:13], v[4:5], v[12:13]
	v_fma_f64 v[54:55], v[54:55], s[22:23], -v[32:33]
	v_fma_f64 v[32:33], v[38:39], s[18:19], -v[56:57]
	;; [unrolled: 1-line block ×5, first 2 shown]
	v_fmac_f64_e32 v[134:135], s[20:21], v[90:91]
	v_add_f64 v[58:59], v[58:59], v[66:67]
	v_add_f64 v[68:69], v[68:69], v[94:95]
	v_fmac_f64_e32 v[136:137], s[20:21], v[12:13]
	v_fmac_f64_e32 v[54:55], s[20:21], v[90:91]
	v_add_f64 v[56:57], v[32:33], v[66:67]
	v_add_f64 v[48:49], v[46:47], v[94:95]
	;; [unrolled: 1-line block ×3, first 2 shown]
	v_fmac_f64_e32 v[50:51], s[20:21], v[90:91]
	v_fma_f64 v[36:37], v[44:45], s[4:5], -v[52:53]
	v_add_f64 v[20:21], v[134:135], v[58:59]
	v_add_f64 v[18:19], v[68:69], -v[136:137]
	v_add_f64 v[32:33], v[54:55], v[56:57]
	v_add_f64 v[38:39], v[46:47], -v[50:51]
	v_add_f64 v[44:45], v[36:37], v[94:95]
	v_add_f64 v[46:47], v[50:51], v[46:47]
	ds_read2_b64 v[94:97], v123 offset1:224
	v_add_f64 v[50:51], v[56:57], -v[54:55]
	v_add_f64 v[54:55], v[58:59], -v[134:135]
	v_add_f64 v[52:53], v[136:137], v[68:69]
	ds_read2_b64 v[134:137], v86 offset0:72 offset1:128
	v_add_f64 v[4:5], v[24:25], -v[4:5]
	v_mul_f64 v[24:25], v[4:5], s[0:1]
	v_fma_f64 v[24:25], v[30:31], s[22:23], -v[24:25]
	v_fma_f64 v[4:5], v[4:5], s[0:1], -v[108:109]
	v_fmac_f64_e32 v[24:25], s[20:21], v[12:13]
	v_fmac_f64_e32 v[4:5], s[20:21], v[12:13]
	s_waitcnt vmcnt(2) lgkmcnt(1)
	v_mul_f64 v[12:13], v[118:119], v[96:97]
	s_waitcnt vmcnt(1)
	v_mul_f64 v[56:57], v[128:129], v[88:89]
	v_mul_f64 v[62:63], v[102:103], v[92:93]
	;; [unrolled: 1-line block ×4, first 2 shown]
	s_waitcnt vmcnt(0) lgkmcnt(0)
	v_mul_f64 v[108:109], v[132:133], v[136:137]
	v_fmac_f64_e32 v[12:13], v[2:3], v[116:117]
	v_fmac_f64_e32 v[56:57], v[28:29], v[126:127]
	;; [unrolled: 1-line block ×6, first 2 shown]
	v_add_f64 v[36:37], v[4:5], v[44:45]
	v_add_f64 v[44:45], v[44:45], -v[4:5]
	v_add_f64 v[58:59], v[12:13], -v[56:57]
	;; [unrolled: 1-line block ×5, first 2 shown]
	v_add_f64 v[48:49], v[24:25], v[48:49]
	v_add_f64 v[68:69], v[58:59], -v[4:5]
	v_add_f64 v[24:25], v[4:5], -v[122:123]
	v_add_f64 v[4:5], v[4:5], v[122:123]
	v_add_f64 v[144:145], v[58:59], v[4:5]
	v_mul_f64 v[4:5], v[28:29], v[128:129]
	v_fma_f64 v[28:29], v[126:127], v[88:89], -v[4:5]
	v_mul_f64 v[4:5], v[10:11], v[132:133]
	v_fma_f64 v[10:11], v[130:131], v[136:137], -v[4:5]
	;; [unrolled: 2-line block ×3, first 2 shown]
	v_mul_u32_u24_e32 v4, 6, v120
	v_mul_f64 v[2:3], v[2:3], v[118:119]
	v_lshlrev_b32_e32 v90, 4, v4
	v_fma_f64 v[2:3], v[116:117], v[96:97], -v[2:3]
	global_load_dwordx4 v[86:89], v90, s[8:9] offset:2672
	global_load_dwordx4 v[112:115], v90, s[8:9] offset:2656
	;; [unrolled: 1-line block ×3, first 2 shown]
	v_mul_f64 v[22:23], v[22:23], v[106:107]
	v_mul_f64 v[16:17], v[16:17], v[102:103]
	v_fma_f64 v[106:107], v[104:105], v[98:99], -v[22:23]
	global_load_dwordx4 v[96:99], v90, s[8:9] offset:2704
	global_load_dwordx4 v[102:105], v90, s[8:9] offset:2688
	v_fma_f64 v[16:17], v[100:101], v[92:93], -v[16:17]
	global_load_dwordx4 v[90:93], v90, s[8:9] offset:2720
	v_add_f64 v[126:127], v[2:3], v[28:29]
	v_add_f64 v[34:35], v[26:27], v[10:11]
	;; [unrolled: 1-line block ×5, first 2 shown]
	v_mul_f64 v[140:141], v[24:25], s[12:13]
	v_add_f64 v[24:25], v[138:139], v[4:5]
	v_add_f64 v[56:57], v[12:13], v[56:57]
	v_add_f64 v[80:81], v[80:81], v[108:109]
	v_mov_b64_e32 v[100:101], v[24:25]
	v_add_f64 v[12:13], v[56:57], v[80:81]
	v_add_f64 v[62:63], v[62:63], v[66:67]
	v_fmac_f64_e32 v[100:101], s[24:25], v[4:5]
	v_add_f64 v[4:5], v[126:127], -v[22:23]
	v_add_f64 v[22:23], v[22:23], -v[34:35]
	v_add_f64 v[12:13], v[62:63], v[12:13]
	v_mul_f64 v[130:131], v[22:23], s[14:15]
	v_add_f64 v[22:23], v[60:61], v[12:13]
	v_mov_b64_e32 v[60:61], v[22:23]
	v_fmac_f64_e32 v[60:61], s[24:25], v[12:13]
	v_add_f64 v[12:13], v[56:57], -v[62:63]
	v_add_f64 v[62:63], v[62:63], -v[80:81]
	v_mul_f64 v[62:63], v[62:63], s[14:15]
	v_mul_f64 v[66:67], v[12:13], s[10:11]
	v_fma_f64 v[12:13], s[10:11], v[12:13], v[62:63]
	v_add_f64 v[28:29], v[2:3], -v[28:29]
	v_add_f64 v[2:3], v[16:17], -v[106:107]
	;; [unrolled: 1-line block ×3, first 2 shown]
	v_add_f64 v[108:109], v[12:13], v[60:61]
	v_add_f64 v[12:13], v[2:3], -v[10:11]
	v_add_f64 v[56:57], v[80:81], -v[56:57]
	;; [unrolled: 1-line block ×4, first 2 shown]
	v_mul_f64 v[26:27], v[12:13], s[12:13]
	v_add_f64 v[2:3], v[2:3], v[10:11]
	v_fma_f64 v[66:67], v[56:57], s[18:19], -v[66:67]
	v_mul_f64 v[10:11], v[80:81], s[0:1]
	v_fma_f64 v[56:57], v[56:57], s[4:5], -v[62:63]
	v_fma_f64 v[106:107], s[26:27], v[16:17], v[26:27]
	v_add_f64 v[136:137], v[28:29], v[2:3]
	v_add_f64 v[66:67], v[66:67], v[60:61]
	v_fma_f64 v[16:17], v[16:17], s[22:23], -v[10:11]
	v_add_f64 v[56:57], v[56:57], v[60:61]
	v_fma_f64 v[60:61], v[80:81], s[0:1], -v[26:27]
	v_fmac_f64_e32 v[16:17], s[20:21], v[136:137]
	v_fmac_f64_e32 v[60:61], s[20:21], v[136:137]
	v_add_f64 v[10:11], v[66:67], -v[16:17]
	v_add_f64 v[26:27], v[60:61], v[56:57]
	v_add_f64 v[56:57], v[56:57], -v[60:61]
	v_add_f64 v[60:61], v[16:17], v[66:67]
	ds_read_b64 v[16:17], v124
	v_add_f64 v[58:59], v[122:123], -v[58:59]
	v_mul_f64 v[128:129], v[4:5], s[10:11]
	v_mul_f64 v[12:13], v[58:59], s[0:1]
	v_add_f64 v[34:35], v[34:35], -v[126:127]
	v_fma_f64 v[142:143], s[26:27], v[68:69], v[140:141]
	v_fma_f64 v[68:69], v[68:69], s[22:23], -v[12:13]
	v_fma_f64 v[12:13], v[34:35], s[18:19], -v[128:129]
	;; [unrolled: 1-line block ×4, first 2 shown]
	v_fmac_f64_e32 v[106:107], s[20:21], v[136:137]
	v_add_f64 v[34:35], v[28:29], v[100:101]
	v_fmac_f64_e32 v[58:59], s[20:21], v[144:145]
	v_add_f64 v[2:3], v[108:109], -v[106:107]
	v_add_f64 v[28:29], v[34:35], -v[58:59]
	v_add_f64 v[58:59], v[58:59], v[34:35]
	v_add_f64 v[66:67], v[106:107], v[108:109]
	v_fma_f64 v[4:5], s[10:11], v[4:5], v[130:131]
	v_add_f64 v[132:133], v[4:5], v[100:101]
	v_add_f64 v[122:123], v[12:13], v[100:101]
	s_waitcnt vmcnt(5)
	v_mul_f64 v[126:127], v[88:89], v[84:85]
	s_waitcnt vmcnt(4)
	v_mul_f64 v[34:35], v[114:115], v[82:83]
	;; [unrolled: 2-line block ×3, first 2 shown]
	v_fmac_f64_e32 v[80:81], v[14:15], v[116:117]
	v_mul_f64 v[14:15], v[14:15], v[118:119]
	v_fma_f64 v[14:15], v[116:117], v[70:71], -v[14:15]
	v_mul_f64 v[70:71], v[78:79], v[114:115]
	s_waitcnt vmcnt(2)
	v_mul_f64 v[106:107], v[98:99], v[64:65]
	s_waitcnt vmcnt(1) lgkmcnt(0)
	v_mul_f64 v[108:109], v[104:105], v[16:17]
	s_waitcnt vmcnt(0)
	v_mul_f64 v[128:129], v[92:93], v[134:135]
	v_fmac_f64_e32 v[128:129], v[8:9], v[90:91]
	v_mul_f64 v[8:9], v[8:9], v[92:93]
	v_fma_f64 v[70:71], v[112:113], v[82:83], -v[70:71]
	v_fma_f64 v[82:83], v[90:91], v[134:135], -v[8:9]
	v_mul_f64 v[8:9], v[76:77], v[88:89]
	v_fmac_f64_e32 v[106:107], v[6:7], v[96:97]
	v_fmac_f64_e32 v[108:109], v[74:75], v[102:103]
	;; [unrolled: 1-line block ×3, first 2 shown]
	v_fma_f64 v[76:77], v[86:87], v[84:85], -v[8:9]
	v_mul_f64 v[74:75], v[74:75], v[104:105]
	v_mul_f64 v[6:7], v[6:7], v[98:99]
	v_fmac_f64_e32 v[34:35], v[78:79], v[112:113]
	v_add_f64 v[78:79], v[70:71], v[14:15]
	v_add_f64 v[84:85], v[76:77], v[82:83]
	v_fma_f64 v[74:75], v[102:103], v[16:17], -v[74:75]
	v_fma_f64 v[64:65], v[96:97], v[64:65], -v[6:7]
	v_add_f64 v[8:9], v[78:79], v[84:85]
	v_add_f64 v[6:7], v[64:65], v[74:75]
	;; [unrolled: 1-line block ×4, first 2 shown]
	v_mov_b64_e32 v[86:87], v[8:9]
	v_fmac_f64_e32 v[86:87], s[24:25], v[16:17]
	v_add_f64 v[16:17], v[78:79], -v[6:7]
	v_add_f64 v[6:7], v[6:7], -v[84:85]
	v_mul_f64 v[90:91], v[6:7], s[14:15]
	v_add_f64 v[100:101], v[34:35], -v[80:81]
	v_fma_f64 v[6:7], s[10:11], v[16:17], v[90:91]
	v_add_f64 v[34:35], v[34:35], v[80:81]
	v_add_f64 v[80:81], v[126:127], v[128:129]
	;; [unrolled: 1-line block ×7, first 2 shown]
	v_fmac_f64_e32 v[68:69], s[20:21], v[144:145]
	v_mov_b64_e32 v[0:1], v[6:7]
	v_fmac_f64_e32 v[142:143], s[20:21], v[144:145]
	v_add_f64 v[12:13], v[68:69], v[122:123]
	v_add_f64 v[62:63], v[122:123], -v[68:69]
	v_add_f64 v[122:123], v[106:107], -v[108:109]
	;; [unrolled: 1-line block ×3, first 2 shown]
	v_fmac_f64_e32 v[0:1], s[24:25], v[96:97]
	v_add_f64 v[96:97], v[34:35], -v[94:95]
	v_add_f64 v[94:95], v[94:95], -v[80:81]
	;; [unrolled: 1-line block ×5, first 2 shown]
	v_add_f64 v[4:5], v[142:143], v[132:133]
	v_add_f64 v[68:69], v[132:133], -v[142:143]
	v_add_f64 v[124:125], v[100:101], -v[122:123]
	;; [unrolled: 1-line block ×3, first 2 shown]
	v_add_f64 v[122:123], v[122:123], v[130:131]
	v_mul_f64 v[98:99], v[96:97], s[10:11]
	v_mul_f64 v[94:95], v[94:95], s[14:15]
	v_add_f64 v[64:65], v[70:71], -v[14:15]
	v_add_f64 v[76:77], v[14:15], -v[74:75]
	v_add_f64 v[14:15], v[14:15], v[74:75]
	v_add_f64 v[34:35], v[80:81], -v[34:35]
	v_add_f64 v[122:123], v[100:101], v[122:123]
	v_fma_f64 v[96:97], s[10:11], v[96:97], v[94:95]
	v_mul_f64 v[82:83], v[76:77], s[12:13]
	v_add_f64 v[104:105], v[70:71], v[14:15]
	v_add_f64 v[100:101], v[130:131], -v[100:101]
	v_fma_f64 v[80:81], v[34:35], s[18:19], -v[98:99]
	v_add_f64 v[70:71], v[74:75], -v[70:71]
	v_fma_f64 v[34:35], v[34:35], s[4:5], -v[94:95]
	v_mul_f64 v[88:89], v[16:17], s[10:11]
	v_add_f64 v[96:97], v[96:97], v[0:1]
	v_mul_f64 v[76:77], v[100:101], s[0:1]
	v_add_f64 v[78:79], v[84:85], -v[78:79]
	v_add_f64 v[98:99], v[80:81], v[0:1]
	v_add_f64 v[0:1], v[34:35], v[0:1]
	v_fma_f64 v[34:35], v[70:71], s[0:1], -v[82:83]
	v_fma_f64 v[106:107], v[124:125], s[22:23], -v[76:77]
	;; [unrolled: 1-line block ×4, first 2 shown]
	v_fmac_f64_e32 v[34:35], s[20:21], v[104:105]
	v_fma_f64 v[102:103], s[26:27], v[64:65], v[82:83]
	v_add_f64 v[84:85], v[78:79], v[86:87]
	v_add_f64 v[78:79], v[34:35], v[0:1]
	v_add_f64 v[82:83], v[0:1], -v[34:35]
	v_lshrrev_b32_e32 v0, 3, v120
	v_mul_f64 v[132:133], v[132:133], s[12:13]
	v_mul_f64 v[74:75], v[70:71], s[0:1]
	v_mul_hi_u32 v0, v0, s2
	v_add_f64 v[88:89], v[76:77], v[86:87]
	v_fma_f64 v[64:65], v[64:65], s[22:23], -v[74:75]
	v_fma_f64 v[86:87], v[100:101], s[0:1], -v[132:133]
	v_lshrrev_b32_e32 v0, 1, v0
	v_fmac_f64_e32 v[64:65], s[20:21], v[104:105]
	v_fmac_f64_e32 v[86:87], s[20:21], v[122:123]
	v_mul_lo_u32 v0, v0, s3
	v_add_f64 v[74:75], v[98:99], -v[64:65]
	v_add_f64 v[80:81], v[84:85], -v[86:87]
	v_add_f64 v[84:85], v[86:87], v[84:85]
	v_add_f64 v[86:87], v[64:65], v[98:99]
	v_sub_u32_e32 v64, v120, v0
	v_mad_u64_u32 v[0:1], s[0:1], s16, v64, 0
	v_mov_b32_e32 v34, v1
	v_mad_u64_u32 v[34:35], s[0:1], s17, v64, v[34:35]
	v_mov_b32_e32 v1, v34
	v_lshl_add_u64 v[34:35], v[72:73], 4, s[6:7]
	v_lshl_add_u64 v[34:35], v[110:111], 4, v[34:35]
	;; [unrolled: 1-line block ×3, first 2 shown]
	global_store_dwordx4 v[0:1], v[6:9], off
	v_fma_f64 v[136:137], s[26:27], v[124:125], v[132:133]
	v_fmac_f64_e32 v[136:137], s[20:21], v[122:123]
	v_add_u32_e32 v7, 0xa8, v64
	v_mad_u64_u32 v[0:1], s[0:1], s16, v7, 0
	v_mov_b32_e32 v6, v1
	v_mad_u64_u32 v[6:7], s[0:1], s17, v7, v[6:7]
	v_fmac_f64_e32 v[102:103], s[20:21], v[104:105]
	v_mov_b32_e32 v1, v6
	v_add_f64 v[16:17], v[136:137], v[92:93]
	v_add_f64 v[92:93], v[92:93], -v[136:137]
	v_add_f64 v[90:91], v[102:103], v[96:97]
	v_lshl_add_u64 v[0:1], v[0:1], 4, v[34:35]
	v_add_u32_e32 v7, 0x150, v64
	global_store_dwordx4 v[0:1], v[90:93], off
	v_mad_u64_u32 v[0:1], s[0:1], s16, v7, 0
	v_mov_b32_e32 v6, v1
	v_mad_u64_u32 v[6:7], s[0:1], s17, v7, v[6:7]
	v_fmac_f64_e32 v[106:107], s[20:21], v[122:123]
	v_mov_b32_e32 v1, v6
	v_add_f64 v[76:77], v[106:107], v[88:89]
	v_add_f64 v[88:89], v[88:89], -v[106:107]
	v_lshl_add_u64 v[0:1], v[0:1], 4, v[34:35]
	v_add_u32_e32 v7, 0x1f8, v64
	global_store_dwordx4 v[0:1], v[86:89], off
	v_mad_u64_u32 v[0:1], s[0:1], s16, v7, 0
	v_mov_b32_e32 v6, v1
	v_mad_u64_u32 v[6:7], s[0:1], s17, v7, v[6:7]
	v_mov_b32_e32 v1, v6
	v_lshl_add_u64 v[0:1], v[0:1], 4, v[34:35]
	v_add_u32_e32 v7, 0x2a0, v64
	global_store_dwordx4 v[0:1], v[82:85], off
	v_mad_u64_u32 v[0:1], s[0:1], s16, v7, 0
	v_mov_b32_e32 v6, v1
	v_mad_u64_u32 v[6:7], s[0:1], s17, v7, v[6:7]
	v_mov_b32_e32 v1, v6
	;; [unrolled: 7-line block ×4, first 2 shown]
	v_add_f64 v[14:15], v[96:97], -v[102:103]
	v_lshl_add_u64 v[0:1], v[0:1], 4, v[34:35]
	global_store_dwordx4 v[0:1], v[14:17], off
	v_add_u32_e32 v0, 56, v120
	v_lshrrev_b32_e32 v1, 3, v0
	v_mul_hi_u32 v1, v1, s2
	v_lshrrev_b32_e32 v1, 1, v1
	v_mul_lo_u32 v6, v1, s3
	v_sub_u32_e32 v0, v0, v6
	s_movk_i32 s4, 0x498
	v_mad_u64_u32 v[0:1], s[0:1], v1, s4, v[0:1]
	v_mad_u64_u32 v[6:7], s[0:1], s16, v0, 0
	v_mov_b32_e32 v8, v7
	v_mad_u64_u32 v[8:9], s[0:1], s17, v0, v[8:9]
	v_mov_b32_e32 v7, v8
	v_lshl_add_u64 v[6:7], v[6:7], 4, v[34:35]
	v_add_u32_e32 v1, 0xa8, v0
	global_store_dwordx4 v[6:7], v[22:25], off
	v_mad_u64_u32 v[6:7], s[0:1], s16, v1, 0
	v_mov_b32_e32 v8, v7
	v_mad_u64_u32 v[8:9], s[0:1], s17, v1, v[8:9]
	v_mov_b32_e32 v7, v8
	v_lshl_add_u64 v[6:7], v[6:7], 4, v[34:35]
	v_add_u32_e32 v1, 0x150, v0
	global_store_dwordx4 v[6:7], v[66:69], off
	v_mad_u64_u32 v[6:7], s[0:1], s16, v1, 0
	v_mov_b32_e32 v8, v7
	v_mad_u64_u32 v[8:9], s[0:1], s17, v1, v[8:9]
	v_mov_b32_e32 v7, v8
	v_lshl_add_u64 v[6:7], v[6:7], 4, v[34:35]
	v_add_u32_e32 v1, 0x1f8, v0
	global_store_dwordx4 v[6:7], v[60:63], off
	v_mad_u64_u32 v[6:7], s[0:1], s16, v1, 0
	v_mov_b32_e32 v8, v7
	v_mad_u64_u32 v[8:9], s[0:1], s17, v1, v[8:9]
	v_mov_b32_e32 v7, v8
	v_lshl_add_u64 v[6:7], v[6:7], 4, v[34:35]
	v_add_u32_e32 v1, 0x2a0, v0
	global_store_dwordx4 v[6:7], v[56:59], off
	v_mad_u64_u32 v[6:7], s[0:1], s16, v1, 0
	v_mov_b32_e32 v8, v7
	v_mad_u64_u32 v[8:9], s[0:1], s17, v1, v[8:9]
	v_mov_b32_e32 v7, v8
	v_lshl_add_u64 v[6:7], v[6:7], 4, v[34:35]
	v_add_u32_e32 v1, 0x348, v0
	global_store_dwordx4 v[6:7], v[26:29], off
	v_mad_u64_u32 v[6:7], s[0:1], s16, v1, 0
	v_mov_b32_e32 v8, v7
	v_mad_u64_u32 v[8:9], s[0:1], s17, v1, v[8:9]
	v_mov_b32_e32 v7, v8
	v_lshl_add_u64 v[6:7], v[6:7], 4, v[34:35]
	global_store_dwordx4 v[6:7], v[10:13], off
	v_add_u32_e32 v7, 0x3f0, v0
	v_mad_u64_u32 v[0:1], s[0:1], s16, v7, 0
	v_mov_b32_e32 v6, v1
	v_mad_u64_u32 v[6:7], s[0:1], s17, v7, v[6:7]
	v_mov_b32_e32 v1, v6
	v_lshl_add_u64 v[0:1], v[0:1], 4, v[34:35]
	global_store_dwordx4 v[0:1], v[2:5], off
	v_add_u32_e32 v0, 0x70, v120
	v_lshrrev_b32_e32 v1, 3, v0
	v_mul_hi_u32 v1, v1, s2
	v_lshrrev_b32_e32 v1, 1, v1
	v_mul_lo_u32 v2, v1, s3
	v_sub_u32_e32 v0, v0, v2
	v_mad_u64_u32 v[0:1], s[0:1], v1, s4, v[0:1]
	v_mad_u64_u32 v[2:3], s[0:1], s16, v0, 0
	v_mov_b32_e32 v4, v3
	v_mad_u64_u32 v[4:5], s[0:1], s17, v0, v[4:5]
	v_mov_b32_e32 v3, v4
	v_lshl_add_u64 v[2:3], v[2:3], 4, v[34:35]
	v_add_u32_e32 v1, 0xa8, v0
	global_store_dwordx4 v[2:3], v[40:43], off
	v_mad_u64_u32 v[2:3], s[0:1], s16, v1, 0
	v_mov_b32_e32 v4, v3
	v_mad_u64_u32 v[4:5], s[0:1], s17, v1, v[4:5]
	v_mov_b32_e32 v3, v4
	v_lshl_add_u64 v[2:3], v[2:3], 4, v[34:35]
	v_add_u32_e32 v1, 0x150, v0
	global_store_dwordx4 v[2:3], v[52:55], off
	;; [unrolled: 7-line block ×5, first 2 shown]
	v_mad_u64_u32 v[2:3], s[0:1], s16, v1, 0
	v_mov_b32_e32 v4, v3
	v_mad_u64_u32 v[4:5], s[0:1], s17, v1, v[4:5]
	v_mov_b32_e32 v3, v4
	v_lshl_add_u64 v[2:3], v[2:3], 4, v[34:35]
	global_store_dwordx4 v[2:3], v[30:33], off
	v_add_u32_e32 v3, 0x3f0, v0
	v_mad_u64_u32 v[0:1], s[0:1], s16, v3, 0
	v_mov_b32_e32 v2, v1
	v_mad_u64_u32 v[2:3], s[0:1], s17, v3, v[2:3]
	v_mov_b32_e32 v1, v2
	v_lshl_add_u64 v[0:1], v[0:1], 4, v[34:35]
	global_store_dwordx4 v[0:1], v[18:21], off
.LBB0_37:
	s_endpgm
	.section	.rodata,"a",@progbits
	.p2align	6, 0x0
	.amdhsa_kernel fft_rtc_back_len1176_factors_2_2_2_3_7_7_wgs_56_tpt_56_halfLds_dp_op_CI_CI_sbrr_dirReg
		.amdhsa_group_segment_fixed_size 0
		.amdhsa_private_segment_fixed_size 0
		.amdhsa_kernarg_size 104
		.amdhsa_user_sgpr_count 2
		.amdhsa_user_sgpr_dispatch_ptr 0
		.amdhsa_user_sgpr_queue_ptr 0
		.amdhsa_user_sgpr_kernarg_segment_ptr 1
		.amdhsa_user_sgpr_dispatch_id 0
		.amdhsa_user_sgpr_kernarg_preload_length 0
		.amdhsa_user_sgpr_kernarg_preload_offset 0
		.amdhsa_user_sgpr_private_segment_size 0
		.amdhsa_uses_dynamic_stack 0
		.amdhsa_enable_private_segment 0
		.amdhsa_system_sgpr_workgroup_id_x 1
		.amdhsa_system_sgpr_workgroup_id_y 0
		.amdhsa_system_sgpr_workgroup_id_z 0
		.amdhsa_system_sgpr_workgroup_info 0
		.amdhsa_system_vgpr_workitem_id 0
		.amdhsa_next_free_vgpr 174
		.amdhsa_next_free_sgpr 32
		.amdhsa_accum_offset 176
		.amdhsa_reserve_vcc 1
		.amdhsa_float_round_mode_32 0
		.amdhsa_float_round_mode_16_64 0
		.amdhsa_float_denorm_mode_32 3
		.amdhsa_float_denorm_mode_16_64 3
		.amdhsa_dx10_clamp 1
		.amdhsa_ieee_mode 1
		.amdhsa_fp16_overflow 0
		.amdhsa_tg_split 0
		.amdhsa_exception_fp_ieee_invalid_op 0
		.amdhsa_exception_fp_denorm_src 0
		.amdhsa_exception_fp_ieee_div_zero 0
		.amdhsa_exception_fp_ieee_overflow 0
		.amdhsa_exception_fp_ieee_underflow 0
		.amdhsa_exception_fp_ieee_inexact 0
		.amdhsa_exception_int_div_zero 0
	.end_amdhsa_kernel
	.text
.Lfunc_end0:
	.size	fft_rtc_back_len1176_factors_2_2_2_3_7_7_wgs_56_tpt_56_halfLds_dp_op_CI_CI_sbrr_dirReg, .Lfunc_end0-fft_rtc_back_len1176_factors_2_2_2_3_7_7_wgs_56_tpt_56_halfLds_dp_op_CI_CI_sbrr_dirReg
                                        ; -- End function
	.section	.AMDGPU.csdata,"",@progbits
; Kernel info:
; codeLenInByte = 15420
; NumSgprs: 38
; NumVgprs: 174
; NumAgprs: 0
; TotalNumVgprs: 174
; ScratchSize: 0
; MemoryBound: 1
; FloatMode: 240
; IeeeMode: 1
; LDSByteSize: 0 bytes/workgroup (compile time only)
; SGPRBlocks: 4
; VGPRBlocks: 21
; NumSGPRsForWavesPerEU: 38
; NumVGPRsForWavesPerEU: 174
; AccumOffset: 176
; Occupancy: 2
; WaveLimiterHint : 1
; COMPUTE_PGM_RSRC2:SCRATCH_EN: 0
; COMPUTE_PGM_RSRC2:USER_SGPR: 2
; COMPUTE_PGM_RSRC2:TRAP_HANDLER: 0
; COMPUTE_PGM_RSRC2:TGID_X_EN: 1
; COMPUTE_PGM_RSRC2:TGID_Y_EN: 0
; COMPUTE_PGM_RSRC2:TGID_Z_EN: 0
; COMPUTE_PGM_RSRC2:TIDIG_COMP_CNT: 0
; COMPUTE_PGM_RSRC3_GFX90A:ACCUM_OFFSET: 43
; COMPUTE_PGM_RSRC3_GFX90A:TG_SPLIT: 0
	.text
	.p2alignl 6, 3212836864
	.fill 256, 4, 3212836864
	.type	__hip_cuid_fc19f97cc27a803f,@object ; @__hip_cuid_fc19f97cc27a803f
	.section	.bss,"aw",@nobits
	.globl	__hip_cuid_fc19f97cc27a803f
__hip_cuid_fc19f97cc27a803f:
	.byte	0                               ; 0x0
	.size	__hip_cuid_fc19f97cc27a803f, 1

	.ident	"AMD clang version 19.0.0git (https://github.com/RadeonOpenCompute/llvm-project roc-6.4.0 25133 c7fe45cf4b819c5991fe208aaa96edf142730f1d)"
	.section	".note.GNU-stack","",@progbits
	.addrsig
	.addrsig_sym __hip_cuid_fc19f97cc27a803f
	.amdgpu_metadata
---
amdhsa.kernels:
  - .agpr_count:     0
    .args:
      - .actual_access:  read_only
        .address_space:  global
        .offset:         0
        .size:           8
        .value_kind:     global_buffer
      - .offset:         8
        .size:           8
        .value_kind:     by_value
      - .actual_access:  read_only
        .address_space:  global
        .offset:         16
        .size:           8
        .value_kind:     global_buffer
      - .actual_access:  read_only
        .address_space:  global
        .offset:         24
        .size:           8
        .value_kind:     global_buffer
      - .actual_access:  read_only
        .address_space:  global
        .offset:         32
        .size:           8
        .value_kind:     global_buffer
      - .offset:         40
        .size:           8
        .value_kind:     by_value
      - .actual_access:  read_only
        .address_space:  global
        .offset:         48
        .size:           8
        .value_kind:     global_buffer
      - .actual_access:  read_only
        .address_space:  global
        .offset:         56
        .size:           8
        .value_kind:     global_buffer
      - .offset:         64
        .size:           4
        .value_kind:     by_value
      - .actual_access:  read_only
        .address_space:  global
        .offset:         72
        .size:           8
        .value_kind:     global_buffer
      - .actual_access:  read_only
        .address_space:  global
        .offset:         80
        .size:           8
        .value_kind:     global_buffer
      - .actual_access:  read_only
        .address_space:  global
        .offset:         88
        .size:           8
        .value_kind:     global_buffer
      - .actual_access:  write_only
        .address_space:  global
        .offset:         96
        .size:           8
        .value_kind:     global_buffer
    .group_segment_fixed_size: 0
    .kernarg_segment_align: 8
    .kernarg_segment_size: 104
    .language:       OpenCL C
    .language_version:
      - 2
      - 0
    .max_flat_workgroup_size: 56
    .name:           fft_rtc_back_len1176_factors_2_2_2_3_7_7_wgs_56_tpt_56_halfLds_dp_op_CI_CI_sbrr_dirReg
    .private_segment_fixed_size: 0
    .sgpr_count:     38
    .sgpr_spill_count: 0
    .symbol:         fft_rtc_back_len1176_factors_2_2_2_3_7_7_wgs_56_tpt_56_halfLds_dp_op_CI_CI_sbrr_dirReg.kd
    .uniform_work_group_size: 1
    .uses_dynamic_stack: false
    .vgpr_count:     174
    .vgpr_spill_count: 0
    .wavefront_size: 64
amdhsa.target:   amdgcn-amd-amdhsa--gfx950
amdhsa.version:
  - 1
  - 2
...

	.end_amdgpu_metadata
